;; amdgpu-corpus repo=ROCm/rocFFT kind=compiled arch=gfx1201 opt=O3
	.text
	.amdgcn_target "amdgcn-amd-amdhsa--gfx1201"
	.amdhsa_code_object_version 6
	.protected	fft_rtc_back_len289_factors_17_17_wgs_119_tpt_17_dp_op_CI_CI_sbcc_dirReg_intrinsicRead ; -- Begin function fft_rtc_back_len289_factors_17_17_wgs_119_tpt_17_dp_op_CI_CI_sbcc_dirReg_intrinsicRead
	.globl	fft_rtc_back_len289_factors_17_17_wgs_119_tpt_17_dp_op_CI_CI_sbcc_dirReg_intrinsicRead
	.p2align	8
	.type	fft_rtc_back_len289_factors_17_17_wgs_119_tpt_17_dp_op_CI_CI_sbcc_dirReg_intrinsicRead,@function
fft_rtc_back_len289_factors_17_17_wgs_119_tpt_17_dp_op_CI_CI_sbcc_dirReg_intrinsicRead: ; @fft_rtc_back_len289_factors_17_17_wgs_119_tpt_17_dp_op_CI_CI_sbcc_dirReg_intrinsicRead
; %bb.0:
	s_clause 0x1
	s_load_b128 s[12:15], s[0:1], 0x18
	s_load_b64 s[18:19], s[0:1], 0x28
	s_mov_b32 s25, 0
	s_mov_b32 s2, 0x92481000
	s_movk_i32 s3, 0x64
	s_mov_b32 s24, s25
	v_mov_b32_e32 v2, v0
	s_add_nc_u64 s[2:3], s[24:25], s[2:3]
	s_mov_b64 s[16:17], 0
	s_add_co_i32 s3, s3, 0x249248c0
	s_delay_alu instid0(SALU_CYCLE_1) | instskip(NEXT) | instid1(SALU_CYCLE_1)
	s_mul_u64 s[4:5], s[2:3], -7
	s_mul_hi_u32 s7, s2, s5
	s_mul_i32 s6, s2, s5
	s_mul_hi_u32 s24, s2, s4
	s_mul_i32 s9, s3, s4
	s_add_nc_u64 s[6:7], s[24:25], s[6:7]
	s_mul_hi_u32 s8, s3, s4
	s_mul_hi_u32 s10, s3, s5
	s_wait_kmcnt 0x0
	s_load_b64 s[22:23], s[12:13], 0x8
	s_mul_i32 s4, s3, s5
	s_add_co_u32 s5, s6, s9
	s_add_co_ci_u32 s24, s7, s8
	s_add_co_ci_u32 s5, s10, 0
	s_delay_alu instid0(SALU_CYCLE_1) | instskip(NEXT) | instid1(SALU_CYCLE_1)
	s_add_nc_u64 s[4:5], s[24:25], s[4:5]
	v_add_co_u32 v0, s2, s2, s4
	s_delay_alu instid0(VALU_DEP_1) | instskip(SKIP_1) | instid1(VALU_DEP_1)
	s_cmp_lg_u32 s2, 0
	s_add_co_ci_u32 s6, s3, s5
	v_readfirstlane_b32 s7, v0
	s_wait_kmcnt 0x0
	s_add_nc_u64 s[2:3], s[22:23], -1
	s_wait_alu 0xfffe
	s_mul_hi_u32 s5, s2, s6
	s_mul_i32 s4, s2, s6
	s_mul_hi_u32 s24, s2, s7
	s_mul_hi_u32 s9, s3, s7
	s_mul_i32 s7, s3, s7
	s_wait_alu 0xfffe
	s_add_nc_u64 s[4:5], s[24:25], s[4:5]
	s_mul_hi_u32 s8, s3, s6
	s_wait_alu 0xfffe
	s_add_co_u32 s4, s4, s7
	s_add_co_ci_u32 s24, s5, s9
	s_mul_i32 s6, s3, s6
	s_add_co_ci_u32 s7, s8, 0
	s_delay_alu instid0(SALU_CYCLE_1) | instskip(SKIP_3) | instid1(SALU_CYCLE_1)
	s_add_nc_u64 s[4:5], s[24:25], s[6:7]
	s_mov_b32 s24, ttmp9
	s_wait_alu 0xfffe
	s_mul_u64 s[6:7], s[4:5], 7
	v_sub_co_u32 v0, s2, s2, s6
	s_delay_alu instid0(VALU_DEP_1) | instskip(SKIP_1) | instid1(VALU_DEP_1)
	s_cmp_lg_u32 s2, 0
	s_sub_co_ci_u32 s8, s3, s7
	v_sub_co_u32 v1, s6, v0, 7
	s_delay_alu instid0(VALU_DEP_1) | instskip(SKIP_2) | instid1(VALU_DEP_2)
	s_cmp_lg_u32 s6, 0
	v_readfirstlane_b32 s10, v0
	s_sub_co_ci_u32 s6, s8, 0
	v_readfirstlane_b32 s2, v1
	s_delay_alu instid0(VALU_DEP_1)
	s_cmp_gt_u32 s2, 6
	s_add_nc_u64 s[2:3], s[4:5], 1
	s_cselect_b32 s9, -1, 0
	s_wait_alu 0xfffe
	s_cmp_eq_u32 s6, 0
	s_add_nc_u64 s[6:7], s[4:5], 2
	s_cselect_b32 s9, s9, -1
	s_delay_alu instid0(SALU_CYCLE_1)
	s_cmp_lg_u32 s9, 0
	s_wait_alu 0xfffe
	s_cselect_b32 s2, s6, s2
	s_cselect_b32 s3, s7, s3
	s_cmp_gt_u32 s10, 6
	s_cselect_b32 s6, -1, 0
	s_cmp_eq_u32 s8, 0
	s_wait_alu 0xfffe
	s_cselect_b32 s6, s6, -1
	s_wait_alu 0xfffe
	s_cmp_lg_u32 s6, 0
	s_cselect_b32 s3, s3, s5
	s_cselect_b32 s2, s2, s4
	s_wait_alu 0xfffe
	s_add_nc_u64 s[28:29], s[2:3], 1
	s_delay_alu instid0(SALU_CYCLE_1) | instskip(NEXT) | instid1(VALU_DEP_1)
	v_cmp_lt_u64_e64 s2, s[24:25], s[28:29]
	s_and_b32 vcc_lo, exec_lo, s2
	s_cbranch_vccnz .LBB0_2
; %bb.1:
	v_cvt_f32_u32_e32 v0, s28
	s_sub_co_i32 s3, 0, s28
	s_mov_b32 s17, s25
	s_delay_alu instid0(VALU_DEP_1) | instskip(NEXT) | instid1(TRANS32_DEP_1)
	v_rcp_iflag_f32_e32 v0, v0
	v_mul_f32_e32 v0, 0x4f7ffffe, v0
	s_delay_alu instid0(VALU_DEP_1) | instskip(NEXT) | instid1(VALU_DEP_1)
	v_cvt_u32_f32_e32 v0, v0
	v_readfirstlane_b32 s2, v0
	s_wait_alu 0xfffe
	s_delay_alu instid0(VALU_DEP_1)
	s_mul_i32 s3, s3, s2
	s_wait_alu 0xfffe
	s_mul_hi_u32 s3, s2, s3
	s_wait_alu 0xfffe
	s_add_co_i32 s2, s2, s3
	s_wait_alu 0xfffe
	s_mul_hi_u32 s2, s24, s2
	s_wait_alu 0xfffe
	s_mul_i32 s3, s2, s28
	s_add_co_i32 s4, s2, 1
	s_wait_alu 0xfffe
	s_sub_co_i32 s3, s24, s3
	s_wait_alu 0xfffe
	s_sub_co_i32 s5, s3, s28
	s_cmp_ge_u32 s3, s28
	s_cselect_b32 s2, s4, s2
	s_wait_alu 0xfffe
	s_cselect_b32 s3, s5, s3
	s_add_co_i32 s4, s2, 1
	s_wait_alu 0xfffe
	s_cmp_ge_u32 s3, s28
	s_cselect_b32 s16, s4, s2
.LBB0_2:
	s_load_b64 s[34:35], s[0:1], 0x10
	s_load_b128 s[8:11], s[14:15], 0x0
	s_load_b128 s[4:7], s[18:19], 0x0
	s_clause 0x1
	s_load_b64 s[20:21], s[0:1], 0x60
	s_load_b64 s[58:59], s[0:1], 0x0
	s_mul_u64 s[2:3], s[16:17], s[28:29]
	s_wait_alu 0xfffe
	s_sub_nc_u64 s[2:3], s[24:25], s[2:3]
	s_wait_alu 0xfffe
	s_mul_u64 s[30:31], s[2:3], 7
	s_wait_kmcnt 0x0
	v_cmp_lt_u64_e64 s9, s[34:35], 3
	s_mul_u64 s[26:27], s[10:11], s[30:31]
	s_mul_u64 s[2:3], s[6:7], s[30:31]
	s_delay_alu instid0(VALU_DEP_1)
	s_and_b32 vcc_lo, exec_lo, s9
	s_cbranch_vccnz .LBB0_12
; %bb.3:
	s_add_nc_u64 s[36:37], s[18:19], 16
	s_add_nc_u64 s[38:39], s[14:15], 16
	;; [unrolled: 1-line block ×3, first 2 shown]
	s_mov_b64 s[40:41], 2
	s_mov_b32 s42, 0
.LBB0_4:                                ; =>This Inner Loop Header: Depth=1
	s_load_b64 s[44:45], s[12:13], 0x0
                                        ; implicit-def: $sgpr48_sgpr49
	s_wait_kmcnt 0x0
	s_or_b64 s[46:47], s[16:17], s[44:45]
	s_delay_alu instid0(SALU_CYCLE_1)
	s_mov_b32 s43, s47
	s_mov_b32 s47, -1
	s_cmp_lg_u64 s[42:43], 0
	s_cbranch_scc0 .LBB0_6
; %bb.5:                                ;   in Loop: Header=BB0_4 Depth=1
	s_cvt_f32_u32 s9, s44
	s_cvt_f32_u32 s33, s45
	s_sub_nc_u64 s[50:51], 0, s[44:45]
	s_mov_b32 s47, 0
	s_mov_b32 s55, s42
	s_wait_alu 0xfffe
	s_fmamk_f32 s9, s33, 0x4f800000, s9
	s_wait_alu 0xfffe
	s_delay_alu instid0(SALU_CYCLE_2) | instskip(NEXT) | instid1(TRANS32_DEP_1)
	v_s_rcp_f32 s9, s9
	s_mul_f32 s9, s9, 0x5f7ffffc
	s_wait_alu 0xfffe
	s_delay_alu instid0(SALU_CYCLE_2) | instskip(NEXT) | instid1(SALU_CYCLE_3)
	s_mul_f32 s33, s9, 0x2f800000
	s_trunc_f32 s33, s33
	s_delay_alu instid0(SALU_CYCLE_3) | instskip(SKIP_2) | instid1(SALU_CYCLE_1)
	s_fmamk_f32 s9, s33, 0xcf800000, s9
	s_cvt_u32_f32 s49, s33
	s_wait_alu 0xfffe
	s_cvt_u32_f32 s48, s9
	s_wait_alu 0xfffe
	s_delay_alu instid0(SALU_CYCLE_2)
	s_mul_u64 s[52:53], s[50:51], s[48:49]
	s_wait_alu 0xfffe
	s_mul_hi_u32 s57, s48, s53
	s_mul_i32 s56, s48, s53
	s_mul_hi_u32 s46, s48, s52
	s_mul_i32 s33, s49, s52
	s_add_nc_u64 s[56:57], s[46:47], s[56:57]
	s_mul_hi_u32 s9, s49, s52
	s_mul_hi_u32 s43, s49, s53
	s_add_co_u32 s33, s56, s33
	s_wait_alu 0xfffe
	s_add_co_ci_u32 s54, s57, s9
	s_mul_i32 s52, s49, s53
	s_add_co_ci_u32 s53, s43, 0
	s_wait_alu 0xfffe
	s_add_nc_u64 s[52:53], s[54:55], s[52:53]
	s_wait_alu 0xfffe
	v_add_co_u32 v0, s9, s48, s52
	s_delay_alu instid0(VALU_DEP_1) | instskip(SKIP_1) | instid1(VALU_DEP_1)
	s_cmp_lg_u32 s9, 0
	s_add_co_ci_u32 s49, s49, s53
	v_readfirstlane_b32 s48, v0
	s_mov_b32 s53, s42
	s_wait_alu 0xfffe
	s_delay_alu instid0(VALU_DEP_1)
	s_mul_u64 s[50:51], s[50:51], s[48:49]
	s_wait_alu 0xfffe
	s_mul_hi_u32 s55, s48, s51
	s_mul_i32 s54, s48, s51
	s_mul_hi_u32 s46, s48, s50
	s_mul_i32 s33, s49, s50
	s_add_nc_u64 s[54:55], s[46:47], s[54:55]
	s_mul_hi_u32 s9, s49, s50
	s_mul_hi_u32 s43, s49, s51
	s_add_co_u32 s33, s54, s33
	s_wait_alu 0xfffe
	s_add_co_ci_u32 s52, s55, s9
	s_mul_i32 s50, s49, s51
	s_add_co_ci_u32 s51, s43, 0
	s_wait_alu 0xfffe
	s_add_nc_u64 s[50:51], s[52:53], s[50:51]
	s_wait_alu 0xfffe
	v_add_co_u32 v0, s9, v0, s50
	s_delay_alu instid0(VALU_DEP_1) | instskip(SKIP_1) | instid1(VALU_DEP_1)
	s_cmp_lg_u32 s9, 0
	s_add_co_ci_u32 s9, s49, s51
	v_readfirstlane_b32 s33, v0
	s_wait_alu 0xfffe
	s_mul_hi_u32 s49, s16, s9
	s_mul_i32 s48, s16, s9
	s_mul_hi_u32 s43, s17, s9
	s_mul_i32 s50, s17, s9
	;; [unrolled: 2-line block ×3, first 2 shown]
	s_wait_alu 0xfffe
	s_add_nc_u64 s[48:49], s[46:47], s[48:49]
	s_mul_hi_u32 s33, s17, s33
	s_wait_alu 0xfffe
	s_add_co_u32 s9, s48, s9
	s_add_co_ci_u32 s52, s49, s33
	s_add_co_ci_u32 s51, s43, 0
	s_wait_alu 0xfffe
	s_add_nc_u64 s[48:49], s[52:53], s[50:51]
	s_wait_alu 0xfffe
	s_mul_u64 s[50:51], s[44:45], s[48:49]
	s_add_nc_u64 s[52:53], s[48:49], 1
	s_wait_alu 0xfffe
	v_sub_co_u32 v0, s9, s16, s50
	s_sub_co_i32 s33, s17, s51
	s_cmp_lg_u32 s9, 0
	s_add_nc_u64 s[54:55], s[48:49], 2
	s_delay_alu instid0(VALU_DEP_1) | instskip(SKIP_2) | instid1(VALU_DEP_1)
	v_sub_co_u32 v1, s43, v0, s44
	s_sub_co_ci_u32 s33, s33, s45
	s_cmp_lg_u32 s43, 0
	v_readfirstlane_b32 s43, v1
	s_sub_co_ci_u32 s33, s33, 0
	s_delay_alu instid0(SALU_CYCLE_1) | instskip(SKIP_1) | instid1(VALU_DEP_1)
	s_cmp_ge_u32 s33, s45
	s_cselect_b32 s46, -1, 0
	s_cmp_ge_u32 s43, s44
	s_cselect_b32 s43, -1, 0
	s_cmp_eq_u32 s33, s45
	s_cselect_b32 s33, s43, s46
	s_delay_alu instid0(SALU_CYCLE_1)
	s_cmp_lg_u32 s33, 0
	s_cselect_b32 s33, s54, s52
	s_cselect_b32 s43, s55, s53
	s_cmp_lg_u32 s9, 0
	v_readfirstlane_b32 s9, v0
	s_sub_co_ci_u32 s46, s17, s51
	s_delay_alu instid0(SALU_CYCLE_1) | instskip(SKIP_1) | instid1(VALU_DEP_1)
	s_cmp_ge_u32 s46, s45
	s_cselect_b32 s50, -1, 0
	s_cmp_ge_u32 s9, s44
	s_cselect_b32 s9, -1, 0
	s_cmp_eq_u32 s46, s45
	s_wait_alu 0xfffe
	s_cselect_b32 s9, s9, s50
	s_wait_alu 0xfffe
	s_cmp_lg_u32 s9, 0
	s_cselect_b32 s49, s43, s49
	s_cselect_b32 s48, s33, s48
.LBB0_6:                                ;   in Loop: Header=BB0_4 Depth=1
	s_and_not1_b32 vcc_lo, exec_lo, s47
	s_cbranch_vccnz .LBB0_8
; %bb.7:                                ;   in Loop: Header=BB0_4 Depth=1
	v_cvt_f32_u32_e32 v0, s44
	s_sub_co_i32 s33, 0, s44
	s_mov_b32 s49, s42
	s_delay_alu instid0(VALU_DEP_1) | instskip(NEXT) | instid1(TRANS32_DEP_1)
	v_rcp_iflag_f32_e32 v0, v0
	v_mul_f32_e32 v0, 0x4f7ffffe, v0
	s_delay_alu instid0(VALU_DEP_1) | instskip(NEXT) | instid1(VALU_DEP_1)
	v_cvt_u32_f32_e32 v0, v0
	v_readfirstlane_b32 s9, v0
	s_delay_alu instid0(VALU_DEP_1) | instskip(NEXT) | instid1(SALU_CYCLE_1)
	s_mul_i32 s33, s33, s9
	s_mul_hi_u32 s33, s9, s33
	s_delay_alu instid0(SALU_CYCLE_1)
	s_add_co_i32 s9, s9, s33
	s_wait_alu 0xfffe
	s_mul_hi_u32 s9, s16, s9
	s_wait_alu 0xfffe
	s_mul_i32 s33, s9, s44
	s_add_co_i32 s43, s9, 1
	s_sub_co_i32 s33, s16, s33
	s_delay_alu instid0(SALU_CYCLE_1)
	s_sub_co_i32 s46, s33, s44
	s_cmp_ge_u32 s33, s44
	s_cselect_b32 s9, s43, s9
	s_cselect_b32 s33, s46, s33
	s_wait_alu 0xfffe
	s_add_co_i32 s43, s9, 1
	s_cmp_ge_u32 s33, s44
	s_cselect_b32 s48, s43, s9
.LBB0_8:                                ;   in Loop: Header=BB0_4 Depth=1
	s_load_b64 s[46:47], s[38:39], 0x0
	s_load_b64 s[50:51], s[36:37], 0x0
	s_add_nc_u64 s[40:41], s[40:41], 1
	s_mul_u64 s[28:29], s[44:45], s[28:29]
	s_wait_alu 0xfffe
	v_cmp_ge_u64_e64 s9, s[40:41], s[34:35]
	s_mul_u64 s[44:45], s[48:49], s[44:45]
	s_add_nc_u64 s[36:37], s[36:37], 8
	s_wait_alu 0xfffe
	s_sub_nc_u64 s[16:17], s[16:17], s[44:45]
	s_add_nc_u64 s[38:39], s[38:39], 8
	s_add_nc_u64 s[12:13], s[12:13], 8
	s_and_b32 vcc_lo, exec_lo, s9
	s_wait_kmcnt 0x0
	s_wait_alu 0xfffe
	s_mul_u64 s[44:45], s[46:47], s[16:17]
	s_mul_u64 s[16:17], s[50:51], s[16:17]
	s_wait_alu 0xfffe
	s_add_nc_u64 s[26:27], s[44:45], s[26:27]
	s_add_nc_u64 s[2:3], s[16:17], s[2:3]
	s_cbranch_vccnz .LBB0_10
; %bb.9:                                ;   in Loop: Header=BB0_4 Depth=1
	s_mov_b64 s[16:17], s[48:49]
	s_branch .LBB0_4
.LBB0_10:
	v_cmp_lt_u64_e64 s9, s[24:25], s[28:29]
	s_mov_b64 s[16:17], 0
	s_delay_alu instid0(VALU_DEP_1)
	s_and_b32 vcc_lo, exec_lo, s9
	s_cbranch_vccnz .LBB0_12
; %bb.11:
	v_cvt_f32_u32_e32 v0, s28
	s_sub_co_i32 s12, 0, s28
	s_mov_b32 s17, 0
	s_delay_alu instid0(VALU_DEP_1) | instskip(NEXT) | instid1(TRANS32_DEP_1)
	v_rcp_iflag_f32_e32 v0, v0
	v_mul_f32_e32 v0, 0x4f7ffffe, v0
	s_delay_alu instid0(VALU_DEP_1) | instskip(NEXT) | instid1(VALU_DEP_1)
	v_cvt_u32_f32_e32 v0, v0
	v_readfirstlane_b32 s9, v0
	s_delay_alu instid0(VALU_DEP_1) | instskip(NEXT) | instid1(SALU_CYCLE_1)
	s_mul_i32 s12, s12, s9
	s_mul_hi_u32 s12, s9, s12
	s_delay_alu instid0(SALU_CYCLE_1)
	s_add_co_i32 s9, s9, s12
	s_wait_alu 0xfffe
	s_mul_hi_u32 s9, s24, s9
	s_wait_alu 0xfffe
	s_mul_i32 s12, s9, s28
	s_add_co_i32 s13, s9, 1
	s_sub_co_i32 s12, s24, s12
	s_delay_alu instid0(SALU_CYCLE_1)
	s_sub_co_i32 s16, s12, s28
	s_cmp_ge_u32 s12, s28
	s_cselect_b32 s9, s13, s9
	s_wait_alu 0xfffe
	s_cselect_b32 s12, s16, s12
	s_add_co_i32 s13, s9, 1
	s_cmp_ge_u32 s12, s28
	s_cselect_b32 s16, s13, s9
.LBB0_12:
	v_mul_u32_u24_e32 v0, 0x2493, v2
	s_load_b64 s[24:25], s[0:1], 0x68
	s_lshl_b64 s[0:1], s[34:35], 3
	v_mov_b32_e32 v7, 0
	s_add_nc_u64 s[12:13], s[14:15], s[0:1]
	v_lshrrev_b32_e32 v255, 16, v0
	s_load_b64 s[12:13], s[12:13], 0x0
	scratch_store_b32 off, v2, off offset:168 ; 4-byte Folded Spill
	s_add_nc_u64 s[14:15], s[30:31], 7
	v_mov_b32_e32 v8, 0
	v_mul_lo_u16 v0, v255, 7
	s_delay_alu instid0(VALU_DEP_1) | instskip(NEXT) | instid1(VALU_DEP_1)
	v_sub_nc_u16 v0, v2, v0
	v_and_b32_e32 v65, 0xffff, v0
	s_delay_alu instid0(VALU_DEP_1)
	v_mad_co_u64_u32 v[69:70], null, s10, v65, 0
	v_add_co_u32 v2, s9, s30, v65
	s_wait_alu 0xf1ff
	v_add_co_ci_u32_e64 v3, null, s31, 0, s9
	v_cmp_le_u64_e64 s9, s[14:15], s[22:23]
	s_wait_kmcnt 0x0
	s_mul_u64 s[12:13], s[12:13], s[16:17]
	s_delay_alu instid0(VALU_DEP_4) | instskip(SKIP_1) | instid1(VALU_DEP_2)
	v_mov_b32_e32 v1, v70
	v_cmp_gt_u64_e32 vcc_lo, s[22:23], v[2:3]
	v_mad_co_u64_u32 v[4:5], null, s11, v65, v[1:2]
	v_mov_b32_e32 v3, v7
	v_dual_mov_b32 v1, v7 :: v_dual_mov_b32 v2, v8
	v_mov_b32_e32 v4, v8
	s_add_nc_u64 s[10:11], s[12:13], s[26:27]
	s_or_b32 s33, s9, vcc_lo
	s_delay_alu instid0(SALU_CYCLE_1)
	s_and_saveexec_b32 s9, s33
	s_cbranch_execz .LBB0_14
; %bb.13:
	v_mul_lo_u32 v0, s8, v255
	v_mov_b32_e32 v2, 0
	s_wait_alu 0xfffe
	s_delay_alu instid0(VALU_DEP_2) | instskip(NEXT) | instid1(VALU_DEP_1)
	v_add3_u32 v1, s10, v69, v0
	v_lshlrev_b64_e32 v[1:2], 4, v[1:2]
	s_delay_alu instid0(VALU_DEP_1) | instskip(NEXT) | instid1(VALU_DEP_2)
	v_add_co_u32 v1, vcc_lo, s20, v1
	v_add_co_ci_u32_e32 v2, vcc_lo, s21, v2, vcc_lo
	global_load_b128 v[1:4], v[1:2], off
.LBB0_14:
	s_wait_alu 0xfffe
	s_or_b32 exec_lo, exec_lo, s9
	v_dual_mov_b32 v5, v7 :: v_dual_mov_b32 v6, v8
	s_and_saveexec_b32 s9, s33
	s_cbranch_execz .LBB0_16
; %bb.15:
	v_add_nc_u32_e32 v0, 17, v255
	v_mov_b32_e32 v6, 0
	s_delay_alu instid0(VALU_DEP_2) | instskip(NEXT) | instid1(VALU_DEP_1)
	v_mul_lo_u32 v0, s8, v0
	v_add3_u32 v5, s10, v69, v0
	s_delay_alu instid0(VALU_DEP_1) | instskip(NEXT) | instid1(VALU_DEP_1)
	v_lshlrev_b64_e32 v[5:6], 4, v[5:6]
	v_add_co_u32 v5, vcc_lo, s20, v5
	s_wait_alu 0xfffd
	s_delay_alu instid0(VALU_DEP_2)
	v_add_co_ci_u32_e32 v6, vcc_lo, s21, v6, vcc_lo
	global_load_b128 v[5:8], v[5:6], off
.LBB0_16:
	s_wait_alu 0xfffe
	s_or_b32 exec_lo, exec_lo, s9
	v_mov_b32_e32 v15, 0
	v_mov_b32_e32 v16, 0
	s_delay_alu instid0(VALU_DEP_2) | instskip(NEXT) | instid1(VALU_DEP_2)
	v_mov_b32_e32 v11, v15
	v_dual_mov_b32 v9, v15 :: v_dual_mov_b32 v10, v16
	v_mov_b32_e32 v12, v16
	s_and_saveexec_b32 s9, s33
	s_cbranch_execz .LBB0_18
; %bb.17:
	v_add_nc_u32_e32 v0, 34, v255
	v_mov_b32_e32 v10, 0
	s_delay_alu instid0(VALU_DEP_2) | instskip(NEXT) | instid1(VALU_DEP_1)
	v_mul_lo_u32 v0, s8, v0
	v_add3_u32 v9, s10, v69, v0
	s_delay_alu instid0(VALU_DEP_1) | instskip(NEXT) | instid1(VALU_DEP_1)
	v_lshlrev_b64_e32 v[9:10], 4, v[9:10]
	v_add_co_u32 v9, vcc_lo, s20, v9
	s_wait_alu 0xfffd
	s_delay_alu instid0(VALU_DEP_2)
	v_add_co_ci_u32_e32 v10, vcc_lo, s21, v10, vcc_lo
	global_load_b128 v[9:12], v[9:10], off
.LBB0_18:
	s_wait_alu 0xfffe
	s_or_b32 exec_lo, exec_lo, s9
	v_dual_mov_b32 v13, v15 :: v_dual_mov_b32 v14, v16
	s_and_saveexec_b32 s9, s33
	s_cbranch_execz .LBB0_20
; %bb.19:
	v_add_nc_u32_e32 v0, 51, v255
	v_mov_b32_e32 v14, 0
	s_delay_alu instid0(VALU_DEP_2) | instskip(NEXT) | instid1(VALU_DEP_1)
	v_mul_lo_u32 v0, s8, v0
	v_add3_u32 v13, s10, v69, v0
	s_delay_alu instid0(VALU_DEP_1) | instskip(NEXT) | instid1(VALU_DEP_1)
	v_lshlrev_b64_e32 v[13:14], 4, v[13:14]
	v_add_co_u32 v13, vcc_lo, s20, v13
	s_wait_alu 0xfffd
	s_delay_alu instid0(VALU_DEP_2)
	v_add_co_ci_u32_e32 v14, vcc_lo, s21, v14, vcc_lo
	global_load_b128 v[13:16], v[13:14], off
.LBB0_20:
	s_wait_alu 0xfffe
	s_or_b32 exec_lo, exec_lo, s9
	v_mov_b32_e32 v23, 0
	v_mov_b32_e32 v24, 0
	s_delay_alu instid0(VALU_DEP_2) | instskip(NEXT) | instid1(VALU_DEP_2)
	v_mov_b32_e32 v19, v23
	v_dual_mov_b32 v17, v23 :: v_dual_mov_b32 v18, v24
	v_mov_b32_e32 v20, v24
	s_and_saveexec_b32 s9, s33
	s_cbranch_execz .LBB0_22
; %bb.21:
	v_add_nc_u32_e32 v0, 0x44, v255
	v_mov_b32_e32 v18, 0
	s_delay_alu instid0(VALU_DEP_2) | instskip(NEXT) | instid1(VALU_DEP_1)
	v_mul_lo_u32 v0, s8, v0
	v_add3_u32 v17, s10, v69, v0
	s_delay_alu instid0(VALU_DEP_1) | instskip(NEXT) | instid1(VALU_DEP_1)
	v_lshlrev_b64_e32 v[17:18], 4, v[17:18]
	v_add_co_u32 v17, vcc_lo, s20, v17
	s_wait_alu 0xfffd
	s_delay_alu instid0(VALU_DEP_2)
	v_add_co_ci_u32_e32 v18, vcc_lo, s21, v18, vcc_lo
	global_load_b128 v[17:20], v[17:18], off
.LBB0_22:
	;; [unrolled: 43-line block ×3, first 2 shown]
	s_wait_alu 0xfffe
	s_or_b32 exec_lo, exec_lo, s9
	v_dual_mov_b32 v29, v31 :: v_dual_mov_b32 v30, v32
	s_and_saveexec_b32 s9, s33
	s_cbranch_execz .LBB0_28
; %bb.27:
	v_add_nc_u32_e32 v0, 0x77, v255
	v_mov_b32_e32 v30, 0
	s_delay_alu instid0(VALU_DEP_2) | instskip(NEXT) | instid1(VALU_DEP_1)
	v_mul_lo_u32 v0, s8, v0
	v_add3_u32 v29, s10, v69, v0
	s_delay_alu instid0(VALU_DEP_1) | instskip(NEXT) | instid1(VALU_DEP_1)
	v_lshlrev_b64_e32 v[29:30], 4, v[29:30]
	v_add_co_u32 v29, vcc_lo, s20, v29
	s_wait_alu 0xfffd
	s_delay_alu instid0(VALU_DEP_2)
	v_add_co_ci_u32_e32 v30, vcc_lo, s21, v30, vcc_lo
	global_load_b128 v[29:32], v[29:30], off
.LBB0_28:
	s_wait_alu 0xfffe
	s_or_b32 exec_lo, exec_lo, s9
	v_mov_b32_e32 v35, 0
	v_mov_b32_e32 v36, 0
	s_delay_alu instid0(VALU_DEP_1)
	v_dual_mov_b32 v40, v36 :: v_dual_mov_b32 v39, v35
	v_dual_mov_b32 v38, v36 :: v_dual_mov_b32 v37, v35
	s_and_saveexec_b32 s9, s33
	s_cbranch_execz .LBB0_30
; %bb.29:
	v_add_nc_u32_e32 v0, 0x88, v255
	v_mov_b32_e32 v34, 0
	s_delay_alu instid0(VALU_DEP_2) | instskip(NEXT) | instid1(VALU_DEP_1)
	v_mul_lo_u32 v0, s8, v0
	v_add3_u32 v33, s10, v69, v0
	s_delay_alu instid0(VALU_DEP_1) | instskip(NEXT) | instid1(VALU_DEP_1)
	v_lshlrev_b64_e32 v[33:34], 4, v[33:34]
	v_add_co_u32 v33, vcc_lo, s20, v33
	s_wait_alu 0xfffd
	s_delay_alu instid0(VALU_DEP_2)
	v_add_co_ci_u32_e32 v34, vcc_lo, s21, v34, vcc_lo
	global_load_b128 v[37:40], v[33:34], off
.LBB0_30:
	s_wait_alu 0xfffe
	s_or_b32 exec_lo, exec_lo, s9
	v_dual_mov_b32 v33, v35 :: v_dual_mov_b32 v34, v36
	s_and_saveexec_b32 s9, s33
	s_cbranch_execz .LBB0_32
; %bb.31:
	v_add_nc_u32_e32 v0, 0x99, v255
	v_mov_b32_e32 v34, 0
	s_delay_alu instid0(VALU_DEP_2) | instskip(NEXT) | instid1(VALU_DEP_1)
	v_mul_lo_u32 v0, s8, v0
	v_add3_u32 v33, s10, v69, v0
	s_delay_alu instid0(VALU_DEP_1) | instskip(NEXT) | instid1(VALU_DEP_1)
	v_lshlrev_b64_e32 v[33:34], 4, v[33:34]
	v_add_co_u32 v33, vcc_lo, s20, v33
	s_wait_alu 0xfffd
	s_delay_alu instid0(VALU_DEP_2)
	v_add_co_ci_u32_e32 v34, vcc_lo, s21, v34, vcc_lo
	global_load_b128 v[33:36], v[33:34], off
.LBB0_32:
	s_wait_alu 0xfffe
	s_or_b32 exec_lo, exec_lo, s9
	v_mov_b32_e32 v43, 0
	v_mov_b32_e32 v44, 0
	s_delay_alu instid0(VALU_DEP_1)
	v_dual_mov_b32 v48, v44 :: v_dual_mov_b32 v47, v43
	v_dual_mov_b32 v46, v44 :: v_dual_mov_b32 v45, v43
	s_and_saveexec_b32 s9, s33
	s_cbranch_execz .LBB0_34
; %bb.33:
	v_add_nc_u32_e32 v0, 0xaa, v255
	v_mov_b32_e32 v42, 0
	s_delay_alu instid0(VALU_DEP_2) | instskip(NEXT) | instid1(VALU_DEP_1)
	v_mul_lo_u32 v0, s8, v0
	v_add3_u32 v41, s10, v69, v0
	s_delay_alu instid0(VALU_DEP_1) | instskip(NEXT) | instid1(VALU_DEP_1)
	v_lshlrev_b64_e32 v[41:42], 4, v[41:42]
	v_add_co_u32 v41, vcc_lo, s20, v41
	s_wait_alu 0xfffd
	s_delay_alu instid0(VALU_DEP_2)
	v_add_co_ci_u32_e32 v42, vcc_lo, s21, v42, vcc_lo
	global_load_b128 v[45:48], v[41:42], off
.LBB0_34:
	;; [unrolled: 42-line block ×4, first 2 shown]
	s_wait_alu 0xfffe
	s_or_b32 exec_lo, exec_lo, s9
	v_dual_mov_b32 v57, v59 :: v_dual_mov_b32 v58, v60
	s_and_saveexec_b32 s9, s33
	s_cbranch_execz .LBB0_44
; %bb.43:
	v_add_nc_u32_e32 v0, 0xff, v255
	v_mov_b32_e32 v58, 0
	s_delay_alu instid0(VALU_DEP_2) | instskip(NEXT) | instid1(VALU_DEP_1)
	v_mul_lo_u32 v0, s8, v0
	v_add3_u32 v57, s10, v69, v0
	s_delay_alu instid0(VALU_DEP_1) | instskip(NEXT) | instid1(VALU_DEP_1)
	v_lshlrev_b64_e32 v[57:58], 4, v[57:58]
	v_add_co_u32 v57, vcc_lo, s20, v57
	s_wait_alu 0xfffd
	s_delay_alu instid0(VALU_DEP_2)
	v_add_co_ci_u32_e32 v58, vcc_lo, s21, v58, vcc_lo
	global_load_b128 v[57:60], v[57:58], off
.LBB0_44:
	s_wait_alu 0xfffe
	s_or_b32 exec_lo, exec_lo, s9
	v_mov_b32_e32 v67, 0
	v_mov_b32_e32 v68, 0
	scratch_store_b32 off, v65, off         ; 4-byte Folded Spill
	v_mov_b32_e32 v65, v67
	s_add_nc_u64 s[62:63], s[18:19], s[0:1]
	v_mov_b32_e32 v66, v68
	s_and_saveexec_b32 s0, s33
	s_cbranch_execz .LBB0_46
; %bb.45:
	v_add_nc_u32_e32 v0, 0x110, v255
	v_mov_b32_e32 v66, 0
	s_delay_alu instid0(VALU_DEP_2) | instskip(NEXT) | instid1(VALU_DEP_1)
	v_mul_lo_u32 v0, s8, v0
	v_add3_u32 v65, s10, v69, v0
	s_delay_alu instid0(VALU_DEP_1) | instskip(NEXT) | instid1(VALU_DEP_1)
	v_lshlrev_b64_e32 v[65:66], 4, v[65:66]
	v_add_co_u32 v65, vcc_lo, s20, v65
	s_wait_alu 0xfffd
	s_delay_alu instid0(VALU_DEP_2)
	v_add_co_ci_u32_e32 v66, vcc_lo, s21, v66, vcc_lo
	global_load_b128 v[65:68], v[65:66], off
.LBB0_46:
	s_or_b32 exec_lo, exec_lo, s0
	s_wait_loadcnt 0x0
	v_add_f64_e32 v[69:70], v[1:2], v[5:6]
	v_add_f64_e32 v[71:72], v[3:4], v[7:8]
	;; [unrolled: 1-line block ×3, first 2 shown]
	v_add_f64_e64 v[125:126], v[37:38], -v[33:34]
	v_add_f64_e64 v[127:128], v[39:40], -v[35:36]
	;; [unrolled: 1-line block ×14, first 2 shown]
	s_mov_b32 s36, 0x5d8e7cdc
	s_mov_b32 s40, 0x2a9d6da3
	s_mov_b32 s48, 0x7c9e640b
	s_mov_b32 s38, 0xeb564b22
	s_mov_b32 s26, 0x923c349f
	s_mov_b32 s28, 0x6c9a05f6
	s_mov_b32 s30, 0x4363dd80
	s_mov_b32 s34, 0xacd6c6b4
	s_mov_b32 s37, 0xbfd71e95
	s_mov_b32 s41, 0xbfe58eea
	s_mov_b32 s49, 0xbfeca52d
	s_mov_b32 s39, 0xbfefdd0d
	s_mov_b32 s27, 0xbfeec746
	s_mov_b32 s29, 0xbfe9895b
	s_mov_b32 s31, 0xbfe0d888
	s_mov_b32 s35, 0xbfc7851a
	s_mov_b32 s0, 0x370991
	s_mov_b32 s8, 0x75d4884
	s_mov_b32 s14, 0x2b2883cd
	s_mov_b32 s18, 0x3259b75e
	s_mov_b32 s22, 0xc61f0d01
	v_add_f64_e32 v[69:70], v[69:70], v[9:10]
	v_add_f64_e32 v[71:72], v[71:72], v[11:12]
	s_mov_b32 s20, 0x6ed5f1bb
	s_mov_b32 s12, 0x910ea3b9
	;; [unrolled: 1-line block ×11, first 2 shown]
	s_wait_alu 0xfffe
	v_mul_f64_e32 v[179:180], s[30:31], v[129:130]
	s_mov_b32 s57, 0x3fe0d888
	s_mov_b32 s56, s30
	;; [unrolled: 1-line block ×3, first 2 shown]
	v_mul_f64_e32 v[111:112], s[56:57], v[137:138]
	s_mov_b32 s52, s26
	s_mov_b32 s43, 0x3feca52d
	s_wait_alu 0xfffe
	v_mul_f64_e32 v[113:114], s[52:53], v[135:136]
	v_mul_f64_e32 v[115:116], s[52:53], v[133:134]
	s_mov_b32 s42, s48
	s_mov_b32 s45, 0x3fd71e95
	v_mul_f64_e32 v[117:118], s[42:43], v[131:132]
	v_mul_f64_e32 v[119:120], s[42:43], v[129:130]
	s_mov_b32 s44, s36
	v_mul_f64_e32 v[139:140], s[28:29], v[183:184]
	s_wait_alu 0xfffe
	v_mul_f64_e32 v[121:122], s[44:45], v[127:128]
	v_mul_f64_e32 v[123:124], s[44:45], v[125:126]
	s_mov_b32 s61, 0x3fc7851a
	s_mov_b32 s60, s34
	v_mul_f64_e32 v[149:150], s[52:53], v[163:164]
	v_mul_f64_e32 v[147:148], s[60:61], v[169:170]
	;; [unrolled: 1-line block ×3, first 2 shown]
	s_mov_b32 s47, 0x3fe58eea
	s_mov_b32 s46, s40
	v_mul_f64_e32 v[159:160], s[36:37], v[135:136]
	v_add_f64_e32 v[69:70], v[69:70], v[13:14]
	v_add_f64_e32 v[71:72], v[71:72], v[15:16]
	v_mul_f64_e32 v[155:156], s[46:47], v[143:144]
	v_mul_f64_e32 v[157:158], s[46:47], v[137:138]
	;; [unrolled: 1-line block ×17, first 2 shown]
	s_mov_b32 s55, 0x3fe9895b
	s_mov_b32 s54, s28
	v_mul_f64_e32 v[239:240], s[46:47], v[127:128]
	v_mul_f64_e32 v[235:236], s[54:55], v[131:132]
	;; [unrolled: 1-line block ×12, first 2 shown]
	s_mov_b32 s51, 0x3fefdd0d
	s_mov_b32 s50, s38
	v_add_f64_e32 v[69:70], v[69:70], v[17:18]
	v_add_f64_e32 v[71:72], v[71:72], v[19:20]
	s_delay_alu instid0(VALU_DEP_2) | instskip(NEXT) | instid1(VALU_DEP_2)
	v_add_f64_e32 v[69:70], v[69:70], v[21:22]
	v_add_f64_e32 v[71:72], v[71:72], v[23:24]
	s_delay_alu instid0(VALU_DEP_2) | instskip(NEXT) | instid1(VALU_DEP_2)
	v_add_f64_e32 v[69:70], v[69:70], v[25:26]
	v_add_f64_e32 v[71:72], v[71:72], v[27:28]
	s_delay_alu instid0(VALU_DEP_2) | instskip(NEXT) | instid1(VALU_DEP_2)
	v_add_f64_e32 v[69:70], v[69:70], v[29:30]
	v_add_f64_e32 v[71:72], v[71:72], v[31:32]
	s_delay_alu instid0(VALU_DEP_2) | instskip(NEXT) | instid1(VALU_DEP_2)
	v_add_f64_e32 v[73:74], v[69:70], v[37:38]
	v_add_f64_e32 v[75:76], v[71:72], v[39:40]
	;; [unrolled: 1-line block ×15, first 2 shown]
	s_delay_alu instid0(VALU_DEP_4) | instskip(NEXT) | instid1(VALU_DEP_4)
	v_add_f64_e32 v[37:38], v[37:38], v[41:42]
	v_add_f64_e32 v[39:40], v[39:40], v[43:44]
	;; [unrolled: 1-line block ×4, first 2 shown]
	s_delay_alu instid0(VALU_DEP_4) | instskip(NEXT) | instid1(VALU_DEP_4)
	v_add_f64_e32 v[21:22], v[37:38], v[53:54]
	v_add_f64_e32 v[23:24], v[39:40], v[55:56]
	;; [unrolled: 1-line block ×4, first 2 shown]
	s_delay_alu instid0(VALU_DEP_4) | instskip(NEXT) | instid1(VALU_DEP_4)
	v_add_f64_e32 v[17:18], v[21:22], v[49:50]
	v_add_f64_e32 v[19:20], v[23:24], v[51:52]
	s_delay_alu instid0(VALU_DEP_2) | instskip(NEXT) | instid1(VALU_DEP_2)
	v_add_f64_e32 v[13:14], v[17:18], v[61:62]
	v_add_f64_e32 v[15:16], v[19:20], v[63:64]
	v_add_f64_e64 v[19:20], v[5:6], -v[65:66]
	v_add_f64_e32 v[17:18], v[7:8], v[67:68]
	s_delay_alu instid0(VALU_DEP_4) | instskip(NEXT) | instid1(VALU_DEP_4)
	v_add_f64_e32 v[9:10], v[13:14], v[57:58]
	v_add_f64_e32 v[11:12], v[15:16], v[59:60]
	v_add_f64_e64 v[13:14], v[7:8], -v[67:68]
	v_add_f64_e32 v[15:16], v[5:6], v[65:66]
	v_mul_f64_e32 v[81:82], s[26:27], v[19:20]
	v_mul_f64_e32 v[83:84], s[28:29], v[19:20]
	;; [unrolled: 1-line block ×3, first 2 shown]
	v_add_f64_e32 v[211:212], v[9:10], v[65:66]
	v_add_f64_e32 v[213:214], v[11:12], v[67:68]
	v_mul_f64_e32 v[9:10], s[36:37], v[13:14]
	v_mul_f64_e32 v[11:12], s[40:41], v[13:14]
	;; [unrolled: 1-line block ×8, first 2 shown]
	v_fma_f64 v[101:102], v[17:18], s[22:23], -v[81:82]
	v_fma_f64 v[81:82], v[17:18], s[22:23], v[81:82]
	v_fma_f64 v[103:104], v[17:18], s[20:21], -v[83:84]
	v_fma_f64 v[83:84], v[17:18], s[20:21], v[83:84]
	;; [unrolled: 2-line block ×3, first 2 shown]
	v_fma_f64 v[55:56], v[15:16], s[0:1], v[9:10]
	v_fma_f64 v[9:10], v[15:16], s[0:1], -v[9:10]
	v_fma_f64 v[57:58], v[15:16], s[8:9], v[11:12]
	v_fma_f64 v[11:12], v[15:16], s[8:9], -v[11:12]
	;; [unrolled: 2-line block ×8, first 2 shown]
	v_mul_f64_e32 v[15:16], s[36:37], v[19:20]
	v_mul_f64_e32 v[49:50], s[40:41], v[19:20]
	;; [unrolled: 1-line block ×5, first 2 shown]
	v_add_f64_e32 v[189:190], v[3:4], v[101:102]
	v_add_f64_e32 v[193:194], v[3:4], v[103:104]
	;; [unrolled: 1-line block ×5, first 2 shown]
	v_mul_f64_e32 v[85:86], s[28:29], v[171:172]
	v_mul_f64_e32 v[105:106], s[34:35], v[163:164]
	v_add_f64_e32 v[5:6], v[1:2], v[9:10]
	v_add_f64_e32 v[9:10], v[1:2], v[57:58]
	v_mul_f64_e32 v[57:58], s[28:29], v[127:128]
	v_add_f64_e32 v[141:142], v[1:2], v[59:60]
	v_mul_f64_e32 v[59:60], s[36:37], v[129:130]
	v_add_f64_e32 v[191:192], v[1:2], v[67:68]
	v_add_f64_e32 v[195:196], v[1:2], v[73:74]
	;; [unrolled: 1-line block ×5, first 2 shown]
	v_fma_f64 v[87:88], v[17:18], s[0:1], -v[15:16]
	v_fma_f64 v[15:16], v[17:18], s[0:1], v[15:16]
	v_fma_f64 v[91:92], v[17:18], s[8:9], v[49:50]
	;; [unrolled: 1-line block ×3, first 2 shown]
	v_fma_f64 v[89:90], v[17:18], s[8:9], -v[49:50]
	v_fma_f64 v[99:100], v[17:18], s[18:19], v[53:54]
	v_fma_f64 v[93:94], v[17:18], s[14:15], -v[51:52]
	v_fma_f64 v[97:98], v[17:18], s[18:19], -v[53:54]
	;; [unrolled: 1-line block ×3, first 2 shown]
	v_fma_f64 v[17:18], v[17:18], s[10:11], v[19:20]
	v_add_f64_e32 v[19:20], v[1:2], v[55:56]
	s_wait_alu 0xfffe
	v_mul_f64_e32 v[49:50], s[50:51], v[135:136]
	v_mul_f64_e32 v[51:52], s[50:51], v[133:134]
	;; [unrolled: 1-line block ×4, first 2 shown]
	scratch_store_b64 off, v[5:6], off offset:8 ; 8-byte Folded Spill
	v_add_f64_e32 v[87:88], v[3:4], v[87:88]
	v_add_f64_e32 v[5:6], v[3:4], v[15:16]
	;; [unrolled: 1-line block ×8, first 2 shown]
	v_mul_f64_e32 v[97:98], s[38:39], v[183:184]
	v_fma_f64 v[13:14], v[41:42], s[20:21], v[85:86]
	v_mul_f64_e32 v[107:108], s[34:35], v[153:154]
	scratch_store_b64 off, v[5:6], off offset:16 ; 8-byte Folded Spill
	v_add_f64_e32 v[5:6], v[1:2], v[11:12]
	scratch_store_b64 off, v[5:6], off offset:32 ; 8-byte Folded Spill
	v_add_f64_e32 v[5:6], v[3:4], v[91:92]
	v_add_f64_e32 v[91:92], v[1:2], v[65:66]
	scratch_store_b64 off, v[5:6], off offset:24 ; 8-byte Folded Spill
	v_add_f64_e32 v[5:6], v[1:2], v[21:22]
	v_add_f64_e32 v[21:22], v[1:2], v[61:62]
	v_mul_f64_e32 v[61:62], s[56:57], v[143:144]
	scratch_store_b64 off, v[5:6], off offset:144 ; 8-byte Folded Spill
	v_add_f64_e32 v[5:6], v[3:4], v[95:96]
	v_add_f64_e32 v[95:96], v[3:4], v[81:82]
	scratch_store_b64 off, v[5:6], off offset:136 ; 8-byte Folded Spill
	v_add_f64_e32 v[5:6], v[1:2], v[23:24]
	v_add_f64_e32 v[23:24], v[1:2], v[63:64]
	v_mul_f64_e32 v[0:1], s[40:41], v[183:184]
	v_mul_f64_e32 v[63:64], s[28:29], v[169:170]
	scratch_store_b64 off, v[5:6], off offset:160 ; 8-byte Folded Spill
	v_add_f64_e32 v[5:6], v[3:4], v[99:100]
	v_mul_f64_e32 v[3:4], s[40:41], v[181:182]
	scratch_store_b64 off, v[0:1], off offset:40 ; 8-byte Folded Spill
	v_fma_f64 v[1:2], v[45:46], s[8:9], v[0:1]
	v_mul_f64_e32 v[99:100], s[38:39], v[181:182]
	scratch_store_b64 off, v[5:6], off offset:152 ; 8-byte Folded Spill
	v_mul_f64_e32 v[5:6], s[48:49], v[171:172]
	scratch_store_b64 off, v[3:4], off offset:48 ; 8-byte Folded Spill
	v_add_f64_e32 v[1:2], v[1:2], v[19:20]
	v_fma_f64 v[3:4], v[47:48], s[8:9], -v[3:4]
	v_fma_f64 v[19:20], v[47:48], s[10:11], -v[217:218]
	scratch_store_b64 off, v[5:6], off offset:56 ; 8-byte Folded Spill
	v_fma_f64 v[11:12], v[41:42], s[14:15], v[5:6]
	v_mul_f64_e32 v[5:6], s[48:49], v[169:170]
	v_add_f64_e32 v[3:4], v[3:4], v[87:88]
	v_mul_f64_e32 v[87:88], s[34:35], v[125:126]
	v_add_f64_e32 v[19:20], v[19:20], v[187:188]
	v_fma_f64 v[187:188], v[41:42], s[8:9], v[247:248]
	v_add_f64_e32 v[1:2], v[11:12], v[1:2]
	scratch_store_b64 off, v[5:6], off offset:64 ; 8-byte Folded Spill
	v_fma_f64 v[11:12], v[43:44], s[14:15], -v[5:6]
	v_mul_f64_e32 v[5:6], s[38:39], v[163:164]
	s_delay_alu instid0(VALU_DEP_2) | instskip(SKIP_3) | instid1(VALU_DEP_2)
	v_add_f64_e32 v[3:4], v[11:12], v[3:4]
	scratch_store_b64 off, v[5:6], off offset:72 ; 8-byte Folded Spill
	v_fma_f64 v[11:12], v[37:38], s[18:19], v[5:6]
	v_mul_f64_e32 v[5:6], s[38:39], v[153:154]
	v_add_f64_e32 v[1:2], v[11:12], v[1:2]
	scratch_store_b64 off, v[5:6], off offset:80 ; 8-byte Folded Spill
	v_fma_f64 v[11:12], v[39:40], s[18:19], -v[5:6]
	v_mul_f64_e32 v[5:6], s[26:27], v[143:144]
	s_delay_alu instid0(VALU_DEP_2) | instskip(SKIP_3) | instid1(VALU_DEP_2)
	v_add_f64_e32 v[3:4], v[11:12], v[3:4]
	scratch_store_b64 off, v[5:6], off offset:88 ; 8-byte Folded Spill
	v_fma_f64 v[11:12], v[29:30], s[22:23], v[5:6]
	v_mul_f64_e32 v[5:6], s[26:27], v[137:138]
	;; [unrolled: 9-line block ×3, first 2 shown]
	v_add_f64_e32 v[1:2], v[11:12], v[1:2]
	scratch_store_b64 off, v[5:6], off offset:112 ; 8-byte Folded Spill
	v_fma_f64 v[11:12], v[31:32], s[20:21], -v[5:6]
	v_mul_f64_e32 v[5:6], s[30:31], v[131:132]
	s_delay_alu instid0(VALU_DEP_2) | instskip(NEXT) | instid1(VALU_DEP_2)
	v_add_f64_e32 v[3:4], v[11:12], v[3:4]
	v_fma_f64 v[11:12], v[69:70], s[12:13], v[5:6]
	scratch_store_b64 off, v[5:6], off offset:120 ; 8-byte Folded Spill
	v_mul_f64_e32 v[5:6], s[34:35], v[127:128]
	v_add_f64_e32 v[1:2], v[11:12], v[1:2]
	v_fma_f64 v[11:12], v[35:36], s[12:13], -v[179:180]
	scratch_store_b64 off, v[5:6], off offset:128 ; 8-byte Folded Spill
	v_add_f64_e32 v[3:4], v[11:12], v[3:4]
	v_fma_f64 v[11:12], v[109:110], s[10:11], v[5:6]
	v_mul_f64_e32 v[6:7], s[40:41], v[133:134]
	s_delay_alu instid0(VALU_DEP_2) | instskip(SKIP_2) | instid1(VALU_DEP_2)
	v_add_f64_e32 v[101:102], v[11:12], v[1:2]
	v_fma_f64 v[11:12], v[71:72], s[10:11], -v[87:88]
	v_mul_f64_e32 v[0:1], s[42:43], v[127:128]
	v_add_f64_e32 v[103:104], v[11:12], v[3:4]
	v_fma_f64 v[11:12], v[45:46], s[18:19], v[97:98]
	v_mul_f64_e32 v[4:5], s[34:35], v[131:132]
	v_mul_f64_e32 v[2:3], s[34:35], v[129:130]
	s_delay_alu instid0(VALU_DEP_3) | instskip(SKIP_1) | instid1(VALU_DEP_2)
	v_add_f64_e32 v[9:10], v[11:12], v[9:10]
	v_fma_f64 v[11:12], v[47:48], s[18:19], -v[99:100]
	v_add_f64_e32 v[9:10], v[13:14], v[9:10]
	s_delay_alu instid0(VALU_DEP_2) | instskip(SKIP_1) | instid1(VALU_DEP_1)
	v_add_f64_e32 v[11:12], v[11:12], v[15:16]
	v_fma_f64 v[13:14], v[43:44], s[20:21], -v[63:64]
	v_add_f64_e32 v[11:12], v[13:14], v[11:12]
	v_fma_f64 v[13:14], v[37:38], s[10:11], v[105:106]
	s_delay_alu instid0(VALU_DEP_1) | instskip(SKIP_1) | instid1(VALU_DEP_1)
	v_add_f64_e32 v[9:10], v[13:14], v[9:10]
	v_fma_f64 v[13:14], v[39:40], s[10:11], -v[107:108]
	v_add_f64_e32 v[11:12], v[13:14], v[11:12]
	v_fma_f64 v[13:14], v[29:30], s[12:13], v[61:62]
	s_delay_alu instid0(VALU_DEP_1) | instskip(SKIP_1) | instid1(VALU_DEP_1)
	v_add_f64_e32 v[9:10], v[13:14], v[9:10]
	v_fma_f64 v[13:14], v[27:28], s[12:13], -v[111:112]
	v_add_f64_e32 v[11:12], v[13:14], v[11:12]
	v_fma_f64 v[13:14], v[33:34], s[22:23], v[113:114]
	s_delay_alu instid0(VALU_DEP_1) | instskip(SKIP_1) | instid1(VALU_DEP_1)
	v_add_f64_e32 v[9:10], v[13:14], v[9:10]
	v_fma_f64 v[13:14], v[31:32], s[22:23], -v[115:116]
	v_add_f64_e32 v[11:12], v[13:14], v[11:12]
	v_fma_f64 v[13:14], v[69:70], s[14:15], v[117:118]
	s_delay_alu instid0(VALU_DEP_1) | instskip(SKIP_1) | instid1(VALU_DEP_1)
	v_add_f64_e32 v[9:10], v[13:14], v[9:10]
	v_fma_f64 v[13:14], v[35:36], s[14:15], -v[119:120]
	v_add_f64_e32 v[11:12], v[13:14], v[11:12]
	v_fma_f64 v[13:14], v[109:110], s[0:1], v[121:122]
	s_delay_alu instid0(VALU_DEP_1) | instskip(SKIP_2) | instid1(VALU_DEP_2)
	v_add_f64_e32 v[77:78], v[13:14], v[9:10]
	v_fma_f64 v[13:14], v[71:72], s[0:1], -v[123:124]
	v_mul_f64_e32 v[8:9], s[50:51], v[137:138]
	v_add_f64_e32 v[79:80], v[13:14], v[11:12]
	v_fma_f64 v[13:14], v[45:46], s[20:21], v[139:140]
	v_fma_f64 v[10:11], v[109:110], s[20:21], v[57:58]
	s_delay_alu instid0(VALU_DEP_2) | instskip(SKIP_1) | instid1(VALU_DEP_1)
	v_add_f64_e32 v[13:14], v[13:14], v[141:142]
	v_mul_f64_e32 v[141:142], s[28:29], v[181:182]
	v_fma_f64 v[15:16], v[47:48], s[20:21], -v[141:142]
	s_delay_alu instid0(VALU_DEP_1) | instskip(SKIP_1) | instid1(VALU_DEP_1)
	v_add_f64_e32 v[15:16], v[15:16], v[145:146]
	v_mul_f64_e32 v[145:146], s[60:61], v[171:172]
	v_fma_f64 v[17:18], v[41:42], s[10:11], v[145:146]
	s_delay_alu instid0(VALU_DEP_1) | instskip(SKIP_1) | instid1(VALU_DEP_1)
	v_add_f64_e32 v[13:14], v[17:18], v[13:14]
	v_fma_f64 v[17:18], v[43:44], s[10:11], -v[147:148]
	v_add_f64_e32 v[15:16], v[17:18], v[15:16]
	v_fma_f64 v[17:18], v[37:38], s[22:23], v[149:150]
	s_delay_alu instid0(VALU_DEP_1) | instskip(SKIP_1) | instid1(VALU_DEP_1)
	v_add_f64_e32 v[13:14], v[17:18], v[13:14]
	v_fma_f64 v[17:18], v[39:40], s[22:23], -v[151:152]
	v_add_f64_e32 v[15:16], v[17:18], v[15:16]
	;; [unrolled: 5-line block ×5, first 2 shown]
	v_fma_f64 v[17:18], v[109:110], s[12:13], v[173:174]
	s_delay_alu instid0(VALU_DEP_1) | instskip(SKIP_2) | instid1(VALU_DEP_2)
	v_add_f64_e32 v[73:74], v[17:18], v[13:14]
	v_fma_f64 v[17:18], v[71:72], s[12:13], -v[175:176]
	v_mul_f64_e32 v[12:13], s[30:31], v[153:154]
	v_add_f64_e32 v[75:76], v[17:18], v[15:16]
	v_fma_f64 v[17:18], v[45:46], s[10:11], v[215:216]
	s_delay_alu instid0(VALU_DEP_1) | instskip(SKIP_1) | instid1(VALU_DEP_1)
	v_add_f64_e32 v[17:18], v[17:18], v[21:22]
	v_fma_f64 v[21:22], v[41:42], s[22:23], v[219:220]
	v_add_f64_e32 v[17:18], v[21:22], v[17:18]
	v_fma_f64 v[21:22], v[43:44], s[22:23], -v[221:222]
	s_delay_alu instid0(VALU_DEP_1) | instskip(SKIP_1) | instid1(VALU_DEP_1)
	v_add_f64_e32 v[19:20], v[21:22], v[19:20]
	v_fma_f64 v[21:22], v[37:38], s[0:1], v[223:224]
	v_add_f64_e32 v[17:18], v[21:22], v[17:18]
	v_fma_f64 v[21:22], v[39:40], s[0:1], -v[225:226]
	;; [unrolled: 5-line block ×6, first 2 shown]
	v_mul_f64_e32 v[16:17], s[30:31], v[163:164]
	s_delay_alu instid0(VALU_DEP_2) | instskip(SKIP_1) | instid1(VALU_DEP_1)
	v_add_f64_e32 v[67:68], v[21:22], v[19:20]
	v_fma_f64 v[21:22], v[45:46], s[12:13], v[243:244]
	v_add_f64_e32 v[21:22], v[21:22], v[23:24]
	v_fma_f64 v[23:24], v[47:48], s[12:13], -v[245:246]
	s_delay_alu instid0(VALU_DEP_2) | instskip(NEXT) | instid1(VALU_DEP_2)
	v_add_f64_e32 v[21:22], v[187:188], v[21:22]
	v_add_f64_e32 v[23:24], v[23:24], v[189:190]
	v_fma_f64 v[187:188], v[43:44], s[8:9], -v[249:250]
	s_delay_alu instid0(VALU_DEP_1) | instskip(SKIP_1) | instid1(VALU_DEP_1)
	v_add_f64_e32 v[23:24], v[187:188], v[23:24]
	v_fma_f64 v[187:188], v[37:38], s[14:15], v[251:252]
	v_add_f64_e32 v[21:22], v[187:188], v[21:22]
	v_fma_f64 v[187:188], v[39:40], s[14:15], -v[253:254]
	s_delay_alu instid0(VALU_DEP_1) | instskip(SKIP_1) | instid1(VALU_DEP_1)
	v_add_f64_e32 v[23:24], v[187:188], v[23:24]
	v_fma_f64 v[187:188], v[29:30], s[10:11], v[185:186]
	;; [unrolled: 5-line block ×4, first 2 shown]
	v_add_f64_e32 v[21:22], v[187:188], v[21:22]
	v_fma_f64 v[187:188], v[35:36], s[0:1], -v[59:60]
	s_delay_alu instid0(VALU_DEP_2) | instskip(NEXT) | instid1(VALU_DEP_2)
	v_add_f64_e32 v[81:82], v[10:11], v[21:22]
	v_add_f64_e32 v[23:24], v[187:188], v[23:24]
	v_fma_f64 v[187:188], v[71:72], s[20:21], -v[55:56]
	v_mul_f64_e32 v[20:21], s[36:37], v[169:170]
	v_mul_f64_e32 v[10:11], s[50:51], v[143:144]
	s_delay_alu instid0(VALU_DEP_3) | instskip(SKIP_1) | instid1(VALU_DEP_4)
	v_add_f64_e32 v[83:84], v[187:188], v[23:24]
	v_mul_f64_e32 v[24:25], s[52:53], v[183:184]
	v_fma_f64 v[18:19], v[43:44], s[0:1], -v[20:21]
	v_fma_f64 v[22:23], v[27:28], s[18:19], -v[8:9]
	v_fma_f64 v[20:21], v[43:44], s[0:1], v[20:21]
	v_fma_f64 v[8:9], v[27:28], s[18:19], v[8:9]
	;; [unrolled: 1-line block ×3, first 2 shown]
	s_delay_alu instid0(VALU_DEP_1) | instskip(SKIP_1) | instid1(VALU_DEP_1)
	v_add_f64_e32 v[14:15], v[14:15], v[191:192]
	v_mul_f64_e32 v[191:192], s[52:53], v[181:182]
	v_fma_f64 v[187:188], v[47:48], s[22:23], -v[191:192]
	s_delay_alu instid0(VALU_DEP_1) | instskip(SKIP_1) | instid1(VALU_DEP_2)
	v_add_f64_e32 v[187:188], v[187:188], v[193:194]
	v_mul_f64_e32 v[193:194], s[36:37], v[171:172]
	v_add_f64_e32 v[18:19], v[18:19], v[187:188]
	s_delay_alu instid0(VALU_DEP_2) | instskip(SKIP_2) | instid1(VALU_DEP_3)
	v_fma_f64 v[189:190], v[41:42], s[0:1], v[193:194]
	v_fma_f64 v[187:188], v[37:38], s[12:13], v[16:17]
	v_fma_f64 v[16:17], v[37:38], s[12:13], -v[16:17]
	v_add_f64_e32 v[14:15], v[189:190], v[14:15]
	s_delay_alu instid0(VALU_DEP_1) | instskip(SKIP_2) | instid1(VALU_DEP_2)
	v_add_f64_e32 v[14:15], v[187:188], v[14:15]
	v_fma_f64 v[187:188], v[39:40], s[12:13], -v[12:13]
	v_fma_f64 v[12:13], v[39:40], s[12:13], v[12:13]
	v_add_f64_e32 v[18:19], v[187:188], v[18:19]
	v_fma_f64 v[187:188], v[29:30], s[18:19], v[10:11]
	v_fma_f64 v[10:11], v[29:30], s[18:19], -v[10:11]
	s_delay_alu instid0(VALU_DEP_3) | instskip(SKIP_1) | instid1(VALU_DEP_4)
	v_add_f64_e32 v[18:19], v[22:23], v[18:19]
	v_mul_f64_e32 v[22:23], s[40:41], v[135:136]
	v_add_f64_e32 v[14:15], v[187:188], v[14:15]
	s_delay_alu instid0(VALU_DEP_2) | instskip(NEXT) | instid1(VALU_DEP_1)
	v_fma_f64 v[187:188], v[33:34], s[8:9], v[22:23]
	v_add_f64_e32 v[14:15], v[187:188], v[14:15]
	v_fma_f64 v[187:188], v[31:32], s[8:9], -v[6:7]
	v_fma_f64 v[6:7], v[31:32], s[8:9], v[6:7]
	s_delay_alu instid0(VALU_DEP_2) | instskip(SKIP_2) | instid1(VALU_DEP_2)
	v_add_f64_e32 v[18:19], v[187:188], v[18:19]
	v_fma_f64 v[187:188], v[69:70], s[10:11], v[4:5]
	v_fma_f64 v[4:5], v[69:70], s[10:11], -v[4:5]
	v_add_f64_e32 v[14:15], v[187:188], v[14:15]
	v_fma_f64 v[187:188], v[35:36], s[10:11], -v[2:3]
	v_fma_f64 v[2:3], v[35:36], s[10:11], v[2:3]
	s_delay_alu instid0(VALU_DEP_2) | instskip(SKIP_2) | instid1(VALU_DEP_2)
	v_add_f64_e32 v[18:19], v[187:188], v[18:19]
	v_fma_f64 v[187:188], v[109:110], s[14:15], v[0:1]
	v_fma_f64 v[0:1], v[109:110], s[14:15], -v[0:1]
	v_add_f64_e32 v[187:188], v[187:188], v[14:15]
	v_mul_f64_e32 v[14:15], s[42:43], v[125:126]
	s_delay_alu instid0(VALU_DEP_1) | instskip(NEXT) | instid1(VALU_DEP_1)
	v_fma_f64 v[189:190], v[71:72], s[14:15], -v[14:15]
	v_add_f64_e32 v[189:190], v[189:190], v[18:19]
	v_fma_f64 v[18:19], v[45:46], s[22:23], -v[24:25]
	v_fma_f64 v[24:25], v[47:48], s[22:23], v[191:192]
	v_fma_f64 v[191:192], v[41:42], s[0:1], -v[193:194]
	s_delay_alu instid0(VALU_DEP_3) | instskip(NEXT) | instid1(VALU_DEP_3)
	v_add_f64_e32 v[18:19], v[18:19], v[195:196]
	v_add_f64_e32 v[24:25], v[24:25], v[197:198]
	s_delay_alu instid0(VALU_DEP_2) | instskip(NEXT) | instid1(VALU_DEP_2)
	v_add_f64_e32 v[18:19], v[191:192], v[18:19]
	v_add_f64_e32 v[20:21], v[20:21], v[24:25]
	s_delay_alu instid0(VALU_DEP_2) | instskip(NEXT) | instid1(VALU_DEP_2)
	;; [unrolled: 3-line block ×3, first 2 shown]
	v_add_f64_e32 v[10:11], v[10:11], v[16:17]
	v_add_f64_e32 v[8:9], v[8:9], v[12:13]
	v_fma_f64 v[12:13], v[33:34], s[8:9], -v[22:23]
	s_delay_alu instid0(VALU_DEP_2) | instskip(NEXT) | instid1(VALU_DEP_2)
	v_add_f64_e32 v[6:7], v[6:7], v[8:9]
	v_add_f64_e32 v[10:11], v[12:13], v[10:11]
	v_mul_f64_e32 v[8:9], s[38:39], v[171:172]
	s_delay_alu instid0(VALU_DEP_3) | instskip(NEXT) | instid1(VALU_DEP_3)
	v_add_f64_e32 v[2:3], v[2:3], v[6:7]
	v_add_f64_e32 v[4:5], v[4:5], v[10:11]
	v_fma_f64 v[6:7], v[71:72], s[14:15], v[14:15]
	s_delay_alu instid0(VALU_DEP_4) | instskip(NEXT) | instid1(VALU_DEP_3)
	v_fma_f64 v[10:11], v[41:42], s[18:19], v[8:9]
	v_add_f64_e32 v[191:192], v[0:1], v[4:5]
	v_mul_f64_e32 v[0:1], s[42:43], v[183:184]
	s_delay_alu instid0(VALU_DEP_4) | instskip(SKIP_1) | instid1(VALU_DEP_3)
	v_add_f64_e32 v[193:194], v[6:7], v[2:3]
	v_mul_f64_e32 v[4:5], s[42:43], v[181:182]
	v_fma_f64 v[2:3], v[45:46], s[14:15], v[0:1]
	v_fma_f64 v[0:1], v[45:46], s[14:15], -v[0:1]
	s_delay_alu instid0(VALU_DEP_3) | instskip(SKIP_1) | instid1(VALU_DEP_4)
	v_fma_f64 v[6:7], v[47:48], s[14:15], -v[4:5]
	v_fma_f64 v[4:5], v[47:48], s[14:15], v[4:5]
	v_add_f64_e32 v[2:3], v[2:3], v[199:200]
	v_mul_f64_e32 v[199:200], s[46:47], v[129:130]
	s_delay_alu instid0(VALU_DEP_4)
	v_add_f64_e32 v[6:7], v[6:7], v[201:202]
	v_mul_f64_e32 v[201:202], s[26:27], v[127:128]
	v_add_f64_e32 v[0:1], v[0:1], v[203:204]
	v_add_f64_e32 v[4:5], v[4:5], v[205:206]
	v_mul_f64_e32 v[129:130], s[26:27], v[129:130]
	v_add_f64_e32 v[2:3], v[10:11], v[2:3]
	v_mul_f64_e32 v[10:11], s[38:39], v[169:170]
	s_delay_alu instid0(VALU_DEP_1) | instskip(NEXT) | instid1(VALU_DEP_1)
	v_fma_f64 v[12:13], v[43:44], s[18:19], -v[10:11]
	v_add_f64_e32 v[6:7], v[12:13], v[6:7]
	v_mul_f64_e32 v[12:13], s[54:55], v[163:164]
	s_delay_alu instid0(VALU_DEP_1) | instskip(NEXT) | instid1(VALU_DEP_1)
	v_fma_f64 v[14:15], v[37:38], s[20:21], v[12:13]
	v_add_f64_e32 v[2:3], v[14:15], v[2:3]
	v_mul_f64_e32 v[14:15], s[54:55], v[153:154]
	s_delay_alu instid0(VALU_DEP_1) | instskip(NEXT) | instid1(VALU_DEP_1)
	v_fma_f64 v[16:17], v[39:40], s[20:21], -v[14:15]
	v_add_f64_e32 v[6:7], v[16:17], v[6:7]
	v_mul_f64_e32 v[16:17], s[36:37], v[143:144]
	s_delay_alu instid0(VALU_DEP_1) | instskip(NEXT) | instid1(VALU_DEP_1)
	v_fma_f64 v[18:19], v[29:30], s[0:1], v[16:17]
	;; [unrolled: 8-line block ×4, first 2 shown]
	v_add_f64_e32 v[2:3], v[195:196], v[2:3]
	v_fma_f64 v[195:196], v[35:36], s[8:9], -v[199:200]
	s_delay_alu instid0(VALU_DEP_1) | instskip(SKIP_1) | instid1(VALU_DEP_1)
	v_add_f64_e32 v[6:7], v[195:196], v[6:7]
	v_fma_f64 v[195:196], v[109:110], s[22:23], v[201:202]
	v_add_f64_e32 v[195:196], v[195:196], v[2:3]
	v_mul_f64_e32 v[2:3], s[26:27], v[125:126]
	s_delay_alu instid0(VALU_DEP_1) | instskip(SKIP_1) | instid1(VALU_DEP_2)
	v_fma_f64 v[197:198], v[71:72], s[22:23], -v[2:3]
	v_fma_f64 v[2:3], v[71:72], s[22:23], v[2:3]
	v_add_f64_e32 v[197:198], v[197:198], v[6:7]
	v_fma_f64 v[6:7], v[41:42], s[18:19], -v[8:9]
	v_mul_f64_e32 v[8:9], s[30:31], v[171:172]
	s_delay_alu instid0(VALU_DEP_2) | instskip(SKIP_1) | instid1(VALU_DEP_3)
	v_add_f64_e32 v[0:1], v[6:7], v[0:1]
	v_fma_f64 v[6:7], v[43:44], s[18:19], v[10:11]
	v_fma_f64 v[10:11], v[41:42], s[12:13], v[8:9]
	s_delay_alu instid0(VALU_DEP_2) | instskip(SKIP_1) | instid1(VALU_DEP_1)
	v_add_f64_e32 v[4:5], v[6:7], v[4:5]
	v_fma_f64 v[6:7], v[37:38], s[20:21], -v[12:13]
	v_add_f64_e32 v[0:1], v[6:7], v[0:1]
	v_fma_f64 v[6:7], v[39:40], s[20:21], v[14:15]
	s_delay_alu instid0(VALU_DEP_1) | instskip(SKIP_1) | instid1(VALU_DEP_1)
	v_add_f64_e32 v[4:5], v[6:7], v[4:5]
	v_fma_f64 v[6:7], v[29:30], s[0:1], -v[16:17]
	v_add_f64_e32 v[0:1], v[6:7], v[0:1]
	v_fma_f64 v[6:7], v[27:28], s[0:1], v[18:19]
	s_delay_alu instid0(VALU_DEP_1) | instskip(SKIP_1) | instid1(VALU_DEP_1)
	;; [unrolled: 5-line block ×3, first 2 shown]
	v_add_f64_e32 v[4:5], v[6:7], v[4:5]
	v_fma_f64 v[6:7], v[69:70], s[8:9], -v[24:25]
	v_add_f64_e32 v[0:1], v[6:7], v[0:1]
	v_fma_f64 v[6:7], v[35:36], s[8:9], v[199:200]
	s_delay_alu instid0(VALU_DEP_1) | instskip(SKIP_1) | instid1(VALU_DEP_2)
	v_add_f64_e32 v[4:5], v[6:7], v[4:5]
	v_fma_f64 v[6:7], v[109:110], s[22:23], -v[201:202]
	v_add_f64_e32 v[201:202], v[2:3], v[4:5]
	s_delay_alu instid0(VALU_DEP_2) | instskip(SKIP_2) | instid1(VALU_DEP_2)
	v_add_f64_e32 v[199:200], v[6:7], v[0:1]
	v_mul_f64_e32 v[0:1], s[44:45], v[183:184]
	v_mul_f64_e32 v[4:5], s[44:45], v[181:182]
	v_fma_f64 v[2:3], v[45:46], s[0:1], v[0:1]
	s_delay_alu instid0(VALU_DEP_2) | instskip(SKIP_1) | instid1(VALU_DEP_3)
	v_fma_f64 v[6:7], v[47:48], s[0:1], -v[4:5]
	v_fma_f64 v[0:1], v[45:46], s[0:1], -v[0:1]
	v_add_f64_e32 v[2:3], v[2:3], v[207:208]
	s_delay_alu instid0(VALU_DEP_3) | instskip(NEXT) | instid1(VALU_DEP_3)
	v_add_f64_e32 v[6:7], v[6:7], v[209:210]
	v_add_f64_e32 v[0:1], v[0:1], v[89:90]
	s_delay_alu instid0(VALU_DEP_3) | instskip(SKIP_1) | instid1(VALU_DEP_1)
	v_add_f64_e32 v[2:3], v[10:11], v[2:3]
	v_mul_f64_e32 v[10:11], s[30:31], v[169:170]
	v_fma_f64 v[12:13], v[43:44], s[12:13], -v[10:11]
	s_delay_alu instid0(VALU_DEP_1) | instskip(SKIP_1) | instid1(VALU_DEP_1)
	v_add_f64_e32 v[6:7], v[12:13], v[6:7]
	v_mul_f64_e32 v[12:13], s[46:47], v[163:164]
	v_fma_f64 v[14:15], v[37:38], s[8:9], v[12:13]
	s_delay_alu instid0(VALU_DEP_1) | instskip(SKIP_1) | instid1(VALU_DEP_1)
	v_add_f64_e32 v[2:3], v[14:15], v[2:3]
	v_mul_f64_e32 v[14:15], s[46:47], v[153:154]
	v_fma_f64 v[16:17], v[39:40], s[8:9], -v[14:15]
	s_delay_alu instid0(VALU_DEP_1) | instskip(SKIP_1) | instid1(VALU_DEP_1)
	v_add_f64_e32 v[6:7], v[16:17], v[6:7]
	v_mul_f64_e32 v[16:17], s[28:29], v[143:144]
	v_fma_f64 v[18:19], v[29:30], s[20:21], v[16:17]
	s_delay_alu instid0(VALU_DEP_1) | instskip(SKIP_1) | instid1(VALU_DEP_1)
	v_add_f64_e32 v[2:3], v[18:19], v[2:3]
	v_mul_f64_e32 v[18:19], s[28:29], v[137:138]
	v_fma_f64 v[20:21], v[27:28], s[20:21], -v[18:19]
	s_delay_alu instid0(VALU_DEP_1) | instskip(SKIP_1) | instid1(VALU_DEP_1)
	v_add_f64_e32 v[6:7], v[20:21], v[6:7]
	v_mul_f64_e32 v[20:21], s[42:43], v[135:136]
	v_fma_f64 v[22:23], v[33:34], s[14:15], v[20:21]
	s_delay_alu instid0(VALU_DEP_1) | instskip(SKIP_2) | instid1(VALU_DEP_2)
	v_add_f64_e32 v[2:3], v[22:23], v[2:3]
	v_mul_f64_e32 v[22:23], s[42:43], v[133:134]
	v_mul_f64_e32 v[133:134], s[50:51], v[125:126]
	v_fma_f64 v[24:25], v[31:32], s[14:15], -v[22:23]
	s_delay_alu instid0(VALU_DEP_1) | instskip(SKIP_1) | instid1(VALU_DEP_1)
	v_add_f64_e32 v[6:7], v[24:25], v[6:7]
	v_mul_f64_e32 v[24:25], s[26:27], v[131:132]
	v_fma_f64 v[131:132], v[69:70], s[22:23], v[24:25]
	s_delay_alu instid0(VALU_DEP_1) | instskip(SKIP_1) | instid1(VALU_DEP_1)
	v_add_f64_e32 v[2:3], v[131:132], v[2:3]
	v_fma_f64 v[131:132], v[35:36], s[22:23], -v[129:130]
	v_add_f64_e32 v[6:7], v[131:132], v[6:7]
	v_mul_f64_e32 v[131:132], s[50:51], v[127:128]
	s_delay_alu instid0(VALU_DEP_1) | instskip(NEXT) | instid1(VALU_DEP_1)
	v_fma_f64 v[125:126], v[109:110], s[18:19], v[131:132]
	v_add_f64_e32 v[125:126], v[125:126], v[2:3]
	v_fma_f64 v[2:3], v[71:72], s[18:19], -v[133:134]
	s_delay_alu instid0(VALU_DEP_1) | instskip(SKIP_3) | instid1(VALU_DEP_3)
	v_add_f64_e32 v[127:128], v[2:3], v[6:7]
	v_fma_f64 v[2:3], v[47:48], s[0:1], v[4:5]
	v_fma_f64 v[4:5], v[41:42], s[12:13], -v[8:9]
	v_fma_f64 v[6:7], v[71:72], s[18:19], v[133:134]
	v_add_f64_e32 v[2:3], v[2:3], v[93:94]
	s_delay_alu instid0(VALU_DEP_3) | instskip(SKIP_1) | instid1(VALU_DEP_1)
	v_add_f64_e32 v[0:1], v[4:5], v[0:1]
	v_fma_f64 v[4:5], v[43:44], s[12:13], v[10:11]
	v_add_f64_e32 v[2:3], v[4:5], v[2:3]
	v_fma_f64 v[4:5], v[37:38], s[8:9], -v[12:13]
	s_delay_alu instid0(VALU_DEP_1) | instskip(SKIP_1) | instid1(VALU_DEP_1)
	v_add_f64_e32 v[0:1], v[4:5], v[0:1]
	v_fma_f64 v[4:5], v[39:40], s[8:9], v[14:15]
	v_add_f64_e32 v[2:3], v[4:5], v[2:3]
	v_fma_f64 v[4:5], v[29:30], s[20:21], -v[16:17]
	s_delay_alu instid0(VALU_DEP_1) | instskip(SKIP_1) | instid1(VALU_DEP_1)
	;; [unrolled: 5-line block ×4, first 2 shown]
	v_add_f64_e32 v[0:1], v[4:5], v[0:1]
	v_fma_f64 v[4:5], v[35:36], s[22:23], v[129:130]
	v_add_f64_e32 v[2:3], v[4:5], v[2:3]
	v_fma_f64 v[4:5], v[109:110], s[18:19], -v[131:132]
	s_delay_alu instid0(VALU_DEP_2) | instskip(NEXT) | instid1(VALU_DEP_2)
	v_add_f64_e32 v[131:132], v[6:7], v[2:3]
	v_add_f64_e32 v[129:130], v[4:5], v[0:1]
	v_fma_f64 v[0:1], v[45:46], s[12:13], -v[243:244]
	v_fma_f64 v[2:3], v[47:48], s[12:13], v[245:246]
	v_fma_f64 v[4:5], v[41:42], s[8:9], -v[247:248]
	v_fma_f64 v[6:7], v[71:72], s[20:21], v[55:56]
	s_delay_alu instid0(VALU_DEP_4) | instskip(NEXT) | instid1(VALU_DEP_4)
	v_add_f64_e32 v[0:1], v[0:1], v[91:92]
	v_add_f64_e32 v[2:3], v[2:3], v[95:96]
	s_delay_alu instid0(VALU_DEP_2) | instskip(SKIP_1) | instid1(VALU_DEP_1)
	v_add_f64_e32 v[0:1], v[4:5], v[0:1]
	v_fma_f64 v[4:5], v[43:44], s[8:9], v[249:250]
	v_add_f64_e32 v[2:3], v[4:5], v[2:3]
	v_fma_f64 v[4:5], v[37:38], s[14:15], -v[251:252]
	s_delay_alu instid0(VALU_DEP_1) | instskip(SKIP_1) | instid1(VALU_DEP_1)
	v_add_f64_e32 v[0:1], v[4:5], v[0:1]
	v_fma_f64 v[4:5], v[39:40], s[14:15], v[253:254]
	v_add_f64_e32 v[2:3], v[4:5], v[2:3]
	v_fma_f64 v[4:5], v[29:30], s[10:11], -v[185:186]
	s_delay_alu instid0(VALU_DEP_1) | instskip(SKIP_1) | instid1(VALU_DEP_1)
	v_add_f64_e32 v[0:1], v[4:5], v[0:1]
	v_fma_f64 v[4:5], v[27:28], s[10:11], v[177:178]
	v_add_f64_e32 v[2:3], v[4:5], v[2:3]
	v_fma_f64 v[4:5], v[33:34], s[18:19], -v[49:50]
	s_delay_alu instid0(VALU_DEP_1) | instskip(SKIP_1) | instid1(VALU_DEP_1)
	v_add_f64_e32 v[0:1], v[4:5], v[0:1]
	v_fma_f64 v[4:5], v[31:32], s[18:19], v[51:52]
	v_add_f64_e32 v[2:3], v[4:5], v[2:3]
	v_fma_f64 v[4:5], v[69:70], s[0:1], -v[53:54]
	s_delay_alu instid0(VALU_DEP_1) | instskip(SKIP_1) | instid1(VALU_DEP_1)
	v_add_f64_e32 v[0:1], v[4:5], v[0:1]
	v_fma_f64 v[4:5], v[35:36], s[0:1], v[59:60]
	v_add_f64_e32 v[2:3], v[4:5], v[2:3]
	v_fma_f64 v[4:5], v[109:110], s[20:21], -v[57:58]
	s_delay_alu instid0(VALU_DEP_2)
	v_add_f64_e32 v[135:136], v[6:7], v[2:3]
	scratch_load_b64 v[2:3], off, off offset:160 th:TH_LOAD_LU ; 8-byte Folded Reload
	v_add_f64_e32 v[133:134], v[4:5], v[0:1]
	scratch_load_b64 v[4:5], off, off offset:152 th:TH_LOAD_LU ; 8-byte Folded Reload
	v_fma_f64 v[0:1], v[45:46], s[10:11], -v[215:216]
	v_fma_f64 v[6:7], v[71:72], s[8:9], v[241:242]
	s_wait_loadcnt 0x1
	s_delay_alu instid0(VALU_DEP_2) | instskip(SKIP_2) | instid1(VALU_DEP_1)
	v_add_f64_e32 v[0:1], v[0:1], v[2:3]
	v_fma_f64 v[2:3], v[47:48], s[10:11], v[217:218]
	s_wait_loadcnt 0x0
	v_add_f64_e32 v[2:3], v[2:3], v[4:5]
	v_fma_f64 v[4:5], v[41:42], s[22:23], -v[219:220]
	s_delay_alu instid0(VALU_DEP_1) | instskip(SKIP_1) | instid1(VALU_DEP_1)
	v_add_f64_e32 v[0:1], v[4:5], v[0:1]
	v_fma_f64 v[4:5], v[43:44], s[22:23], v[221:222]
	v_add_f64_e32 v[2:3], v[4:5], v[2:3]
	v_fma_f64 v[4:5], v[37:38], s[0:1], -v[223:224]
	s_delay_alu instid0(VALU_DEP_1) | instskip(SKIP_1) | instid1(VALU_DEP_1)
	v_add_f64_e32 v[0:1], v[4:5], v[0:1]
	v_fma_f64 v[4:5], v[39:40], s[0:1], v[225:226]
	v_add_f64_e32 v[2:3], v[4:5], v[2:3]
	v_fma_f64 v[4:5], v[29:30], s[14:15], -v[227:228]
	s_delay_alu instid0(VALU_DEP_1) | instskip(SKIP_1) | instid1(VALU_DEP_1)
	v_add_f64_e32 v[0:1], v[4:5], v[0:1]
	v_fma_f64 v[4:5], v[27:28], s[14:15], v[229:230]
	v_add_f64_e32 v[2:3], v[4:5], v[2:3]
	v_fma_f64 v[4:5], v[33:34], s[12:13], -v[231:232]
	s_delay_alu instid0(VALU_DEP_1) | instskip(SKIP_1) | instid1(VALU_DEP_1)
	v_add_f64_e32 v[0:1], v[4:5], v[0:1]
	v_fma_f64 v[4:5], v[31:32], s[12:13], v[233:234]
	v_add_f64_e32 v[2:3], v[4:5], v[2:3]
	v_fma_f64 v[4:5], v[69:70], s[20:21], -v[235:236]
	s_delay_alu instid0(VALU_DEP_1) | instskip(SKIP_1) | instid1(VALU_DEP_1)
	v_add_f64_e32 v[0:1], v[4:5], v[0:1]
	v_fma_f64 v[4:5], v[35:36], s[20:21], v[237:238]
	v_add_f64_e32 v[2:3], v[4:5], v[2:3]
	v_fma_f64 v[4:5], v[109:110], s[8:9], -v[239:240]
	s_delay_alu instid0(VALU_DEP_2)
	v_add_f64_e32 v[95:96], v[6:7], v[2:3]
	scratch_load_b64 v[2:3], off, off offset:144 th:TH_LOAD_LU ; 8-byte Folded Reload
	v_add_f64_e32 v[93:94], v[4:5], v[0:1]
	scratch_load_b64 v[4:5], off, off offset:136 th:TH_LOAD_LU ; 8-byte Folded Reload
	v_fma_f64 v[0:1], v[45:46], s[20:21], -v[139:140]
	v_fma_f64 v[6:7], v[71:72], s[12:13], v[175:176]
	s_wait_loadcnt 0x1
	s_delay_alu instid0(VALU_DEP_2) | instskip(SKIP_2) | instid1(VALU_DEP_1)
	v_add_f64_e32 v[0:1], v[0:1], v[2:3]
	v_fma_f64 v[2:3], v[47:48], s[20:21], v[141:142]
	s_wait_loadcnt 0x0
	v_add_f64_e32 v[2:3], v[2:3], v[4:5]
	v_fma_f64 v[4:5], v[41:42], s[10:11], -v[145:146]
	s_delay_alu instid0(VALU_DEP_1) | instskip(SKIP_1) | instid1(VALU_DEP_1)
	;; [unrolled: 39-line block ×3, first 2 shown]
	v_add_f64_e32 v[0:1], v[4:5], v[0:1]
	v_fma_f64 v[4:5], v[43:44], s[20:21], v[63:64]
	v_add_f64_e32 v[2:3], v[4:5], v[2:3]
	v_fma_f64 v[4:5], v[37:38], s[10:11], -v[105:106]
	s_delay_alu instid0(VALU_DEP_1) | instskip(SKIP_1) | instid1(VALU_DEP_1)
	v_add_f64_e32 v[0:1], v[4:5], v[0:1]
	v_fma_f64 v[4:5], v[39:40], s[10:11], v[107:108]
	v_add_f64_e32 v[2:3], v[4:5], v[2:3]
	v_fma_f64 v[4:5], v[29:30], s[12:13], -v[61:62]
	s_delay_alu instid0(VALU_DEP_1) | instskip(SKIP_1) | instid1(VALU_DEP_1)
	;; [unrolled: 5-line block ×4, first 2 shown]
	v_add_f64_e32 v[0:1], v[4:5], v[0:1]
	v_fma_f64 v[4:5], v[35:36], s[14:15], v[119:120]
	v_add_f64_e32 v[2:3], v[4:5], v[2:3]
	v_fma_f64 v[4:5], v[109:110], s[0:1], -v[121:122]
	s_delay_alu instid0(VALU_DEP_2) | instskip(NEXT) | instid1(VALU_DEP_2)
	v_add_f64_e32 v[99:100], v[6:7], v[2:3]
	v_add_f64_e32 v[97:98], v[4:5], v[0:1]
	s_clause 0x3
	scratch_load_b64 v[0:1], off, off offset:40 th:TH_LOAD_LU
	scratch_load_b64 v[6:7], off, off offset:64 th:TH_LOAD_LU
	;; [unrolled: 1-line block ×4, first 2 shown]
	s_wait_loadcnt 0x3
	v_fma_f64 v[0:1], v[45:46], s[8:9], -v[0:1]
	s_wait_loadcnt 0x2
	v_fma_f64 v[6:7], v[43:44], s[14:15], v[6:7]
	scratch_load_b32 v44, off, off          ; 4-byte Folded Reload
	s_wait_loadcnt 0x2
	v_add_f64_e32 v[0:1], v[0:1], v[4:5]
	scratch_load_b64 v[4:5], off, off offset:16 th:TH_LOAD_LU ; 8-byte Folded Reload
	s_wait_loadcnt 0x2
	v_fma_f64 v[2:3], v[47:48], s[8:9], v[2:3]
	s_wait_loadcnt 0x1
	v_lshlrev_b32_e32 v25, 4, v44
	s_wait_loadcnt 0x0
	s_delay_alu instid0(VALU_DEP_2)
	v_add_f64_e32 v[2:3], v[2:3], v[4:5]
	scratch_load_b64 v[4:5], off, off offset:56 th:TH_LOAD_LU ; 8-byte Folded Reload
	v_add_f64_e32 v[2:3], v[6:7], v[2:3]
	scratch_load_b64 v[6:7], off, off offset:80 th:TH_LOAD_LU ; 8-byte Folded Reload
	s_wait_loadcnt 0x1
	v_fma_f64 v[4:5], v[41:42], s[14:15], -v[4:5]
	s_delay_alu instid0(VALU_DEP_1) | instskip(SKIP_3) | instid1(VALU_DEP_1)
	v_add_f64_e32 v[0:1], v[4:5], v[0:1]
	scratch_load_b64 v[4:5], off, off offset:72 th:TH_LOAD_LU ; 8-byte Folded Reload
	s_wait_loadcnt 0x1
	v_fma_f64 v[6:7], v[39:40], s[18:19], v[6:7]
	v_add_f64_e32 v[2:3], v[6:7], v[2:3]
	scratch_load_b64 v[6:7], off, off offset:96 th:TH_LOAD_LU ; 8-byte Folded Reload
	s_wait_loadcnt 0x1
	v_fma_f64 v[4:5], v[37:38], s[18:19], -v[4:5]
	s_delay_alu instid0(VALU_DEP_1) | instskip(SKIP_3) | instid1(VALU_DEP_1)
	v_add_f64_e32 v[0:1], v[4:5], v[0:1]
	scratch_load_b64 v[4:5], off, off offset:88 th:TH_LOAD_LU ; 8-byte Folded Reload
	s_wait_loadcnt 0x1
	v_fma_f64 v[6:7], v[27:28], s[22:23], v[6:7]
	;; [unrolled: 9-line block ×3, first 2 shown]
	v_add_f64_e32 v[2:3], v[6:7], v[2:3]
	v_fma_f64 v[6:7], v[35:36], s[12:13], v[179:180]
	s_delay_alu instid0(VALU_DEP_1) | instskip(SKIP_1) | instid1(VALU_DEP_1)
	v_add_f64_e32 v[2:3], v[6:7], v[2:3]
	v_fma_f64 v[6:7], v[71:72], s[10:11], v[87:88]
	v_add_f64_e32 v[28:29], v[6:7], v[2:3]
	s_wait_loadcnt 0x0
	v_fma_f64 v[4:5], v[33:34], s[20:21], -v[4:5]
	s_delay_alu instid0(VALU_DEP_1) | instskip(SKIP_3) | instid1(VALU_DEP_1)
	v_add_f64_e32 v[0:1], v[4:5], v[0:1]
	scratch_load_b64 v[4:5], off, off offset:120 th:TH_LOAD_LU ; 8-byte Folded Reload
	s_wait_loadcnt 0x0
	v_fma_f64 v[4:5], v[69:70], s[12:13], -v[4:5]
	v_add_f64_e32 v[0:1], v[4:5], v[0:1]
	scratch_load_b64 v[4:5], off, off offset:128 th:TH_LOAD_LU ; 8-byte Folded Reload
	s_wait_loadcnt 0x0
	v_fma_f64 v[4:5], v[109:110], s[10:11], -v[4:5]
	s_delay_alu instid0(VALU_DEP_1) | instskip(SKIP_1) | instid1(VALU_DEP_1)
	v_add_f64_e32 v[26:27], v[4:5], v[0:1]
	v_mul_u32_u24_e32 v0, 0x770, v255
	v_add3_u32 v0, 0, v0, v25
	ds_store_b128 v0, v[211:214]
	ds_store_b128 v0, v[101:104] offset:112
	ds_store_b128 v0, v[77:80] offset:224
	ds_store_b128 v0, v[73:76] offset:336
	ds_store_b128 v0, v[65:68] offset:448
	ds_store_b128 v0, v[81:84] offset:560
	ds_store_b128 v0, v[187:190] offset:672
	s_load_b64 s[62:63], s[62:63], 0x0
	ds_store_b128 v0, v[195:198] offset:784
	ds_store_b128 v0, v[125:128] offset:896
	;; [unrolled: 1-line block ×10, first 2 shown]
	global_wb scope:SCOPE_SE
	s_wait_storecnt_dscnt 0x0
	s_wait_kmcnt 0x0
	s_barrier_signal -1
	s_barrier_wait -1
	global_inv scope:SCOPE_SE
	s_and_saveexec_b32 s64, s33
	s_cbranch_execz .LBB0_48
; %bb.47:
	v_mul_lo_u16 v0, v255, 31
	s_lshl_b64 s[2:3], s[2:3], 4
	s_delay_alu instid0(VALU_DEP_1) | instskip(NEXT) | instid1(VALU_DEP_1)
	v_lshrrev_b16 v0, 9, v0
	v_mul_lo_u16 v0, v0, 17
	s_delay_alu instid0(VALU_DEP_1) | instskip(NEXT) | instid1(VALU_DEP_1)
	v_sub_nc_u16 v0, v255, v0
	v_and_b32_e32 v29, 0xff, v0
	v_mul_u32_u24_e32 v0, 0x70, v255
	s_delay_alu instid0(VALU_DEP_2) | instskip(NEXT) | instid1(VALU_DEP_2)
	v_lshlrev_b32_e32 v43, 8, v29
	v_add3_u32 v30, 0, v0, v25
	s_clause 0x4
	global_load_b128 v[1:4], v43, s[58:59] offset:112
	global_load_b128 v[5:8], v43, s[58:59] offset:128
	global_load_b128 v[9:12], v43, s[58:59] offset:96
	global_load_b128 v[13:16], v43, s[58:59] offset:144
	global_load_b128 v[31:34], v43, s[58:59] offset:80
	ds_load_b128 v[17:20], v30 offset:15232
	ds_load_b128 v[21:24], v30 offset:17136
	s_wait_loadcnt_dscnt 0x401
	v_mul_f64_e32 v[25:26], v[19:20], v[3:4]
	v_mul_f64_e32 v[3:4], v[17:18], v[3:4]
	s_wait_loadcnt_dscnt 0x300
	v_mul_f64_e32 v[27:28], v[23:24], v[7:8]
	v_mul_f64_e32 v[7:8], v[21:22], v[7:8]
	s_delay_alu instid0(VALU_DEP_4) | instskip(NEXT) | instid1(VALU_DEP_4)
	v_fma_f64 v[17:18], v[17:18], v[1:2], v[25:26]
	v_fma_f64 v[25:26], v[19:20], v[1:2], -v[3:4]
	ds_load_b128 v[1:4], v30 offset:13328
	ds_load_b128 v[35:38], v30 offset:11424
	v_fma_f64 v[21:22], v[21:22], v[5:6], v[27:28]
	v_fma_f64 v[19:20], v[23:24], v[5:6], -v[7:8]
	ds_load_b128 v[5:8], v30 offset:19040
	s_wait_loadcnt_dscnt 0x202
	v_mul_f64_e32 v[39:40], v[3:4], v[11:12]
	v_mul_f64_e32 v[11:12], v[1:2], v[11:12]
	v_add_f64_e32 v[77:78], v[17:18], v[21:22]
	v_add_f64_e32 v[75:76], v[25:26], v[19:20]
	s_delay_alu instid0(VALU_DEP_4) | instskip(NEXT) | instid1(VALU_DEP_4)
	v_fma_f64 v[73:74], v[1:2], v[9:10], v[39:40]
	v_fma_f64 v[27:28], v[3:4], v[9:10], -v[11:12]
	ds_load_b128 v[1:4], v30 offset:20944
	s_wait_loadcnt_dscnt 0x101
	v_mul_f64_e32 v[9:10], v[7:8], v[15:16]
	v_mul_f64_e32 v[11:12], v[5:6], v[15:16]
	v_add_f64_e64 v[39:40], v[17:18], -v[21:22]
	s_delay_alu instid0(VALU_DEP_3) | instskip(NEXT) | instid1(VALU_DEP_3)
	v_fma_f64 v[23:24], v[5:6], v[13:14], v[9:10]
	v_fma_f64 v[53:54], v[7:8], v[13:14], -v[11:12]
	s_wait_loadcnt 0x0
	v_mul_f64_e32 v[9:10], v[37:38], v[33:34]
	v_mul_f64_e32 v[11:12], v[35:36], v[33:34]
	global_load_b128 v[5:8], v43, s[58:59] offset:64
	v_mul_f64_e32 v[129:130], s[46:47], v[39:40]
	v_mul_f64_e32 v[193:194], s[28:29], v[39:40]
	;; [unrolled: 1-line block ×3, first 2 shown]
	v_add_f64_e32 v[65:66], v[73:74], v[23:24]
	v_add_f64_e32 v[63:64], v[27:28], v[53:54]
	v_fma_f64 v[59:60], v[35:36], v[31:32], v[9:10]
	v_fma_f64 v[51:52], v[37:38], v[31:32], -v[11:12]
	s_clause 0x1
	global_load_b128 v[9:12], v43, s[58:59] offset:160
	global_load_b128 v[13:16], v43, s[58:59] offset:176
	v_add_f64_e64 v[35:36], v[73:74], -v[23:24]
	v_add_f64_e64 v[37:38], v[25:26], -v[19:20]
	s_delay_alu instid0(VALU_DEP_2) | instskip(NEXT) | instid1(VALU_DEP_2)
	v_mul_f64_e32 v[139:140], s[54:55], v[35:36]
	v_mul_f64_e32 v[127:128], s[46:47], v[37:38]
	;; [unrolled: 1-line block ×6, first 2 shown]
	s_wait_loadcnt_dscnt 0x100
	v_mul_f64_e32 v[31:32], v[3:4], v[11:12]
	s_delay_alu instid0(VALU_DEP_1) | instskip(SKIP_1) | instid1(VALU_DEP_2)
	v_fma_f64 v[79:80], v[1:2], v[9:10], v[31:32]
	v_mul_f64_e32 v[0:1], v[1:2], v[11:12]
	v_add_f64_e64 v[33:34], v[59:60], -v[79:80]
	s_delay_alu instid0(VALU_DEP_2)
	v_fma_f64 v[57:58], v[3:4], v[9:10], -v[0:1]
	ds_load_b128 v[1:4], v30 offset:9520
	ds_load_b128 v[9:12], v30 offset:7616
	v_add_f64_e32 v[61:62], v[59:60], v[79:80]
	s_wait_dscnt 0x1
	v_mul_f64_e32 v[31:32], v[3:4], v[7:8]
	v_mul_f64_e32 v[131:132], s[36:37], v[33:34]
	;; [unrolled: 1-line block ×6, first 2 shown]
	v_fma_f64 v[81:82], v[1:2], v[5:6], v[31:32]
	v_mul_f64_e32 v[0:1], v[1:2], v[7:8]
	s_delay_alu instid0(VALU_DEP_1) | instskip(SKIP_4) | instid1(VALU_DEP_1)
	v_fma_f64 v[55:56], v[3:4], v[5:6], -v[0:1]
	ds_load_b128 v[1:4], v30 offset:22848
	ds_load_b128 v[5:8], v30 offset:24752
	s_wait_loadcnt_dscnt 0x1
	v_mul_f64_e32 v[31:32], v[3:4], v[15:16]
	v_fma_f64 v[45:46], v[1:2], v[13:14], v[31:32]
	v_mul_f64_e32 v[0:1], v[1:2], v[15:16]
	s_delay_alu instid0(VALU_DEP_1)
	v_fma_f64 v[47:48], v[3:4], v[13:14], -v[0:1]
	s_clause 0x1
	global_load_b128 v[1:4], v43, s[58:59] offset:48
	global_load_b128 v[13:16], v43, s[58:59] offset:32
	s_wait_loadcnt 0x1
	v_mul_f64_e32 v[31:32], v[11:12], v[3:4]
	v_mul_f64_e32 v[3:4], v[9:10], v[3:4]
	s_delay_alu instid0(VALU_DEP_2) | instskip(NEXT) | instid1(VALU_DEP_2)
	v_fma_f64 v[49:50], v[9:10], v[1:2], v[31:32]
	v_fma_f64 v[99:100], v[11:12], v[1:2], -v[3:4]
	s_clause 0x1
	global_load_b128 v[1:4], v43, s[58:59] offset:192
	global_load_b128 v[9:12], v43, s[58:59] offset:208
	s_wait_loadcnt_dscnt 0x100
	v_mul_f64_e32 v[31:32], v[7:8], v[3:4]
	v_mul_f64_e32 v[3:4], v[5:6], v[3:4]
	s_delay_alu instid0(VALU_DEP_2) | instskip(NEXT) | instid1(VALU_DEP_2)
	v_fma_f64 v[85:86], v[5:6], v[1:2], v[31:32]
	v_fma_f64 v[87:88], v[7:8], v[1:2], -v[3:4]
	ds_load_b128 v[1:4], v30 offset:5712
	ds_load_b128 v[5:8], v30 offset:3808
	s_wait_dscnt 0x1
	v_mul_f64_e32 v[31:32], v[3:4], v[15:16]
	v_add_f64_e32 v[83:84], v[99:100], v[87:88]
	s_delay_alu instid0(VALU_DEP_2) | instskip(SKIP_1) | instid1(VALU_DEP_1)
	v_fma_f64 v[89:90], v[1:2], v[13:14], v[31:32]
	v_mul_f64_e32 v[0:1], v[1:2], v[15:16]
	v_fma_f64 v[91:92], v[3:4], v[13:14], -v[0:1]
	ds_load_b128 v[1:4], v30 offset:26656
	ds_load_b128 v[13:16], v30 offset:28560
	s_wait_loadcnt_dscnt 0x1
	v_mul_f64_e32 v[31:32], v[3:4], v[11:12]
	s_delay_alu instid0(VALU_DEP_1) | instskip(SKIP_1) | instid1(VALU_DEP_1)
	v_fma_f64 v[41:42], v[1:2], v[9:10], v[31:32]
	v_mul_f64_e32 v[0:1], v[1:2], v[11:12]
	v_fma_f64 v[93:94], v[3:4], v[9:10], -v[0:1]
	s_clause 0x1
	global_load_b128 v[9:12], v43, s[58:59] offset:16
	global_load_b128 v[1:4], v43, s[58:59]
	s_wait_loadcnt 0x1
	v_mul_f64_e32 v[31:32], v[7:8], v[11:12]
	s_delay_alu instid0(VALU_DEP_1) | instskip(SKIP_1) | instid1(VALU_DEP_1)
	v_fma_f64 v[95:96], v[5:6], v[9:10], v[31:32]
	v_mul_f64_e32 v[5:6], v[5:6], v[11:12]
	v_fma_f64 v[97:98], v[7:8], v[9:10], -v[5:6]
	s_clause 0x1
	global_load_b128 v[9:12], v43, s[58:59] offset:224
	global_load_b128 v[5:8], v43, s[58:59] offset:240
	s_wait_loadcnt_dscnt 0x100
	v_mul_f64_e32 v[31:32], v[15:16], v[11:12]
	v_mul_f64_e32 v[11:12], v[13:14], v[11:12]
	s_delay_alu instid0(VALU_DEP_2) | instskip(NEXT) | instid1(VALU_DEP_2)
	v_fma_f64 v[69:70], v[13:14], v[9:10], v[31:32]
	v_fma_f64 v[71:72], v[15:16], v[9:10], -v[11:12]
	ds_load_b128 v[9:12], v30 offset:1904
	ds_load_b128 v[13:16], v30
	s_wait_dscnt 0x1
	v_mul_f64_e32 v[31:32], v[11:12], v[3:4]
	v_mul_f64_e32 v[3:4], v[9:10], v[3:4]
	s_delay_alu instid0(VALU_DEP_2) | instskip(NEXT) | instid1(VALU_DEP_2)
	v_fma_f64 v[101:102], v[9:10], v[1:2], v[31:32]
	v_fma_f64 v[103:104], v[11:12], v[1:2], -v[3:4]
	ds_load_b128 v[1:4], v30 offset:30464
	v_add_f64_e64 v[31:32], v[51:52], -v[57:58]
	s_wait_loadcnt_dscnt 0x0
	v_mul_f64_e32 v[9:10], v[3:4], v[7:8]
	s_delay_alu instid0(VALU_DEP_2)
	v_mul_f64_e32 v[109:110], s[36:37], v[31:32]
	v_mul_f64_e32 v[141:142], s[30:31], v[31:32]
	;; [unrolled: 1-line block ×4, first 2 shown]
	v_fma_f64 v[105:106], v[1:2], v[5:6], v[9:10]
	v_mul_f64_e32 v[0:1], v[1:2], v[7:8]
	s_delay_alu instid0(VALU_DEP_2) | instskip(NEXT) | instid1(VALU_DEP_2)
	v_add_f64_e64 v[10:11], v[101:102], -v[105:106]
	v_fma_f64 v[107:108], v[3:4], v[5:6], -v[0:1]
	v_mad_co_u64_u32 v[5:6], null, s6, v44, 0
	v_add_f64_e32 v[2:3], v[13:14], v[101:102]
	s_delay_alu instid0(VALU_DEP_2) | instskip(NEXT) | instid1(VALU_DEP_1)
	v_mov_b32_e32 v0, v6
	v_mad_co_u64_u32 v[0:1], null, s7, v44, v[0:1]
	s_mul_u64 s[6:7], s[62:63], s[16:17]
	v_add_f64_e64 v[43:44], v[27:28], -v[53:54]
	s_wait_alu 0xfffe
	s_lshl_b64 s[6:7], s[6:7], 4
	s_wait_alu 0xfffe
	s_add_nc_u64 s[6:7], s[24:25], s[6:7]
	s_delay_alu instid0(VALU_DEP_2) | instskip(SKIP_3) | instid1(VALU_DEP_2)
	v_mov_b32_e32 v6, v0
	v_add_f64_e32 v[0:1], v[15:16], v[103:104]
	s_wait_alu 0xfffe
	s_add_nc_u64 s[2:3], s[6:7], s[2:3]
	v_lshlrev_b64_e32 v[5:6], 4, v[5:6]
	s_wait_alu 0xfffe
	s_delay_alu instid0(VALU_DEP_1) | instskip(SKIP_1) | instid1(VALU_DEP_2)
	v_add_co_u32 v12, vcc_lo, s2, v5
	s_wait_alu 0xfffd
	v_add_co_ci_u32_e32 v255, vcc_lo, s3, v6, vcc_lo
	v_mul_f64_e32 v[135:136], s[40:41], v[10:11]
	v_mul_f64_e32 v[159:160], s[48:49], v[10:11]
	;; [unrolled: 1-line block ×4, first 2 shown]
	v_add_f64_e32 v[2:3], v[2:3], v[95:96]
	v_mul_f64_e32 v[231:232], s[28:29], v[10:11]
	v_mul_f64_e32 v[233:234], s[30:31], v[10:11]
	;; [unrolled: 1-line block ×5, first 2 shown]
	v_add_f64_e32 v[0:1], v[0:1], v[97:98]
	v_add_f64_e32 v[2:3], v[2:3], v[89:90]
	s_delay_alu instid0(VALU_DEP_2) | instskip(NEXT) | instid1(VALU_DEP_2)
	v_add_f64_e32 v[0:1], v[0:1], v[91:92]
	v_add_f64_e32 v[2:3], v[2:3], v[49:50]
	s_delay_alu instid0(VALU_DEP_2) | instskip(NEXT) | instid1(VALU_DEP_2)
	;; [unrolled: 3-line block ×3, first 2 shown]
	v_add_f64_e32 v[0:1], v[0:1], v[55:56]
	v_add_f64_e32 v[2:3], v[2:3], v[59:60]
	;; [unrolled: 1-line block ×3, first 2 shown]
	s_delay_alu instid0(VALU_DEP_3) | instskip(NEXT) | instid1(VALU_DEP_3)
	v_add_f64_e32 v[0:1], v[0:1], v[51:52]
	v_add_f64_e32 v[2:3], v[2:3], v[73:74]
	;; [unrolled: 1-line block ×4, first 2 shown]
	s_delay_alu instid0(VALU_DEP_4)
	v_add_f64_e32 v[0:1], v[0:1], v[27:28]
	v_add_f64_e64 v[27:28], v[55:56], -v[47:48]
	v_add_f64_e32 v[55:56], v[89:90], v[41:42]
	v_add_f64_e32 v[2:3], v[2:3], v[17:18]
	v_add_f64_e64 v[17:18], v[97:98], -v[71:72]
	v_add_f64_e32 v[0:1], v[0:1], v[25:26]
	v_add_f64_e64 v[25:26], v[49:50], -v[85:86]
	v_mul_f64_e32 v[111:112], s[46:47], v[27:28]
	v_mul_f64_e32 v[143:144], s[48:49], v[27:28]
	v_mul_f64_e32 v[183:184], s[34:35], v[27:28]
	v_mul_f64_e32 v[215:216], s[50:51], v[27:28]
	v_mul_f64_e32 v[251:252], s[36:37], v[27:28]
	v_add_f64_e32 v[2:3], v[2:3], v[21:22]
	v_add_f64_e64 v[21:22], v[89:90], -v[41:42]
	v_mul_f64_e32 v[119:120], s[28:29], v[17:18]
	v_mul_f64_e32 v[151:152], s[34:35], v[17:18]
	v_mul_f64_e32 v[171:172], s[56:57], v[17:18]
	v_mul_f64_e32 v[203:204], s[52:53], v[17:18]
	v_mul_f64_e32 v[241:242], s[42:43], v[17:18]
	;; [unrolled: 7-line block ×4, first 2 shown]
	v_mul_f64_e32 v[205:206], s[36:37], v[21:22]
	v_mul_f64_e32 v[239:240], s[38:39], v[21:22]
	v_add_f64_e32 v[0:1], v[0:1], v[53:54]
	v_add_f64_e32 v[53:54], v[95:96], v[69:70]
	v_mul_f64_e32 v[115:116], s[60:61], v[19:20]
	v_mul_f64_e32 v[147:148], s[52:53], v[19:20]
	v_mul_f64_e32 v[175:176], s[46:47], v[19:20]
	v_mul_f64_e32 v[207:208], s[36:37], v[19:20]
	v_mul_f64_e32 v[243:244], s[38:39], v[19:20]
	v_add_f64_e32 v[2:3], v[2:3], v[79:80]
	v_mul_f64_e32 v[113:114], s[52:53], v[23:24]
	v_mul_f64_e32 v[145:146], s[44:45], v[23:24]
	;; [unrolled: 1-line block ×6, first 2 shown]
	v_add_f64_e32 v[0:1], v[0:1], v[57:58]
	v_add_f64_e32 v[57:58], v[49:50], v[85:86]
	;; [unrolled: 1-line block ×3, first 2 shown]
	v_mul_f64_e32 v[97:98], s[30:31], v[39:40]
	v_add_f64_e32 v[2:3], v[2:3], v[45:46]
	v_add_f64_e32 v[0:1], v[0:1], v[47:48]
	;; [unrolled: 1-line block ×3, first 2 shown]
	v_mul_f64_e32 v[91:92], s[34:35], v[25:26]
	s_delay_alu instid0(VALU_DEP_4) | instskip(SKIP_2) | instid1(VALU_DEP_3)
	v_add_f64_e32 v[2:3], v[2:3], v[85:86]
	v_mul_f64_e32 v[85:86], s[34:35], v[31:32]
	v_add_f64_e32 v[0:1], v[0:1], v[87:88]
	v_add_f64_e32 v[2:3], v[2:3], v[41:42]
	;; [unrolled: 1-line block ×3, first 2 shown]
	s_delay_alu instid0(VALU_DEP_3) | instskip(NEXT) | instid1(VALU_DEP_3)
	v_add_f64_e32 v[0:1], v[0:1], v[93:94]
	v_add_f64_e32 v[7:8], v[2:3], v[69:70]
	s_delay_alu instid0(VALU_DEP_2) | instskip(NEXT) | instid1(VALU_DEP_1)
	v_add_f64_e32 v[0:1], v[0:1], v[71:72]
	v_add_f64_e32 v[3:4], v[0:1], v[107:108]
	scratch_load_b32 v0, off, off offset:168 th:TH_LOAD_LU ; 4-byte Folded Reload
	v_add_f64_e32 v[1:2], v[7:8], v[105:106]
	s_wait_loadcnt 0x0
	v_and_b32_e32 v0, 0xffff, v0
	s_delay_alu instid0(VALU_DEP_1) | instskip(NEXT) | instid1(VALU_DEP_1)
	v_mul_u32_u24_e32 v0, 0x227, v0
	v_lshrrev_b32_e32 v0, 16, v0
	s_delay_alu instid0(VALU_DEP_1) | instskip(NEXT) | instid1(VALU_DEP_1)
	v_mul_lo_u16 v0, 0x121, v0
	v_and_b32_e32 v0, 0xffff, v0
	s_delay_alu instid0(VALU_DEP_1)
	v_add_nc_u32_e32 v67, v29, v0
	v_add_f64_e64 v[29:30], v[81:82], -v[45:46]
	v_add_f64_e32 v[45:46], v[101:102], v[105:106]
	v_mul_f64_e32 v[105:106], s[36:37], v[10:11]
	v_mul_f64_e32 v[101:102], s[38:39], v[43:44]
	v_mad_co_u64_u32 v[7:8], null, s4, v67, 0
	v_mul_f64_e32 v[81:82], s[46:47], v[35:36]
	s_delay_alu instid0(VALU_DEP_2) | instskip(SKIP_1) | instid1(VALU_DEP_2)
	v_mov_b32_e32 v0, v8
	v_add_nc_u32_e32 v72, 0x77, v67
	v_mad_co_u64_u32 v[8:9], null, s5, v67, v[0:1]
	s_delay_alu instid0(VALU_DEP_1) | instskip(SKIP_2) | instid1(VALU_DEP_3)
	v_lshlrev_b64_e32 v[5:6], 4, v[7:8]
	v_add_f64_e64 v[8:9], v[95:96], -v[69:70]
	v_mul_f64_e32 v[95:96], s[30:31], v[37:38]
	v_add_co_u32 v5, vcc_lo, v12, v5
	s_wait_alu 0xfffd
	s_delay_alu instid0(VALU_DEP_4)
	v_add_co_ci_u32_e32 v6, vcc_lo, v255, v6, vcc_lo
	global_store_b128 v[5:6], v[1:4], off
	v_add_f64_e64 v[6:7], v[103:104], -v[107:108]
	v_fma_f64 v[0:1], v[41:42], s[0:1], -v[105:106]
	v_mul_f64_e32 v[4:5], s[40:41], v[17:18]
	v_mul_f64_e32 v[93:94], s[56:57], v[29:30]
	;; [unrolled: 1-line block ×15, first 2 shown]
	v_add_f64_e32 v[0:1], v[15:16], v[0:1]
	scratch_store_b64 off, v[4:5], off offset:72 ; 8-byte Folded Spill
	v_fma_f64 v[68:69], v[53:54], s[8:9], v[4:5]
	v_mul_f64_e32 v[4:5], s[48:49], v[21:22]
	v_mul_f64_e32 v[137:138], s[40:41], v[6:7]
	;; [unrolled: 1-line block ×7, first 2 shown]
	scratch_store_b64 off, v[2:3], off offset:64 ; 8-byte Folded Spill
	v_fma_f64 v[2:3], v[49:50], s[8:9], -v[2:3]
	scratch_store_b64 off, v[4:5], off offset:80 ; 8-byte Folded Spill
	v_add_f64_e32 v[0:1], v[2:3], v[0:1]
	v_fma_f64 v[2:3], v[45:46], s[0:1], v[107:108]
	s_delay_alu instid0(VALU_DEP_1) | instskip(NEXT) | instid1(VALU_DEP_1)
	v_add_f64_e32 v[2:3], v[13:14], v[2:3]
	v_add_f64_e32 v[2:3], v[68:69], v[2:3]
	v_fma_f64 v[68:69], v[47:48], s[14:15], -v[4:5]
	v_mul_f64_e32 v[4:5], s[48:49], v[19:20]
	s_delay_alu instid0(VALU_DEP_2) | instskip(SKIP_3) | instid1(VALU_DEP_2)
	v_add_f64_e32 v[0:1], v[68:69], v[0:1]
	scratch_store_b64 off, v[4:5], off offset:56 ; 8-byte Folded Spill
	v_fma_f64 v[68:69], v[55:56], s[14:15], v[4:5]
	v_mul_f64_e32 v[4:5], s[38:39], v[25:26]
	v_add_f64_e32 v[2:3], v[68:69], v[2:3]
	scratch_store_b64 off, v[4:5], off offset:88 ; 8-byte Folded Spill
	v_fma_f64 v[68:69], v[83:84], s[18:19], -v[4:5]
	v_mul_f64_e32 v[4:5], s[38:39], v[23:24]
	s_delay_alu instid0(VALU_DEP_2) | instskip(SKIP_3) | instid1(VALU_DEP_2)
	v_add_f64_e32 v[0:1], v[68:69], v[0:1]
	scratch_store_b64 off, v[4:5], off offset:48 ; 8-byte Folded Spill
	v_fma_f64 v[68:69], v[57:58], s[18:19], v[4:5]
	v_mul_f64_e32 v[4:5], s[26:27], v[29:30]
	v_add_f64_e32 v[2:3], v[68:69], v[2:3]
	scratch_store_b64 off, v[4:5], off offset:104 ; 8-byte Folded Spill
	;; [unrolled: 9-line block ×4, first 2 shown]
	v_fma_f64 v[68:69], v[63:64], s[12:13], -v[4:5]
	v_mul_f64_e32 v[4:5], s[30:31], v[43:44]
	s_delay_alu instid0(VALU_DEP_2) | instskip(SKIP_3) | instid1(VALU_DEP_2)
	v_add_f64_e32 v[0:1], v[68:69], v[0:1]
	scratch_store_b64 off, v[4:5], off offset:16 ; 8-byte Folded Spill
	v_fma_f64 v[68:69], v[65:66], s[12:13], v[4:5]
	v_mul_f64_e32 v[4:5], s[34:35], v[39:40]
	v_add_f64_e32 v[2:3], v[68:69], v[2:3]
	s_delay_alu instid0(VALU_DEP_2) | instskip(NEXT) | instid1(VALU_DEP_1)
	v_fma_f64 v[68:69], v[75:76], s[10:11], -v[4:5]
	v_add_f64_e32 v[70:71], v[68:69], v[0:1]
	v_mul_f64_e32 v[0:1], s[34:35], v[37:38]
	scratch_store_b64 off, v[4:5], off offset:8 ; 8-byte Folded Spill
	v_mul_f64_e32 v[4:5], s[38:39], v[17:18]
	scratch_store_b64 off, v[0:1], off      ; 8-byte Folded Spill
	v_fma_f64 v[0:1], v[77:78], s[10:11], v[0:1]
	scratch_store_b64 off, v[4:5], off offset:184 ; 8-byte Folded Spill
	v_add_f64_e32 v[68:69], v[0:1], v[2:3]
	v_add_nc_u32_e32 v2, 17, v67
	s_delay_alu instid0(VALU_DEP_1) | instskip(NEXT) | instid1(VALU_DEP_1)
	v_mad_co_u64_u32 v[0:1], null, s4, v2, 0
	v_mad_co_u64_u32 v[1:2], null, s5, v2, v[1:2]
	v_mul_f64_e32 v[2:3], s[38:39], v[8:9]
	v_mul_f64_e32 v[8:9], s[44:45], v[8:9]
	s_delay_alu instid0(VALU_DEP_3) | instskip(NEXT) | instid1(VALU_DEP_1)
	v_lshlrev_b64_e32 v[0:1], 4, v[0:1]
	v_add_co_u32 v0, vcc_lo, v12, v0
	s_wait_alu 0xfffd
	s_delay_alu instid0(VALU_DEP_2)
	v_add_co_ci_u32_e32 v1, vcc_lo, v255, v1, vcc_lo
	global_store_b128 v[0:1], v[68:71], off
	v_fma_f64 v[0:1], v[41:42], s[8:9], -v[135:136]
	v_fma_f64 v[68:69], v[53:54], s[18:19], v[4:5]
	v_mul_f64_e32 v[4:5], s[28:29], v[19:20]
	v_mul_f64_e32 v[19:20], s[30:31], v[19:20]
	scratch_store_b64 off, v[2:3], off offset:176 ; 8-byte Folded Spill
	v_fma_f64 v[2:3], v[49:50], s[18:19], -v[2:3]
	v_add_f64_e32 v[0:1], v[15:16], v[0:1]
	scratch_store_b64 off, v[4:5], off offset:168 ; 8-byte Folded Spill
	v_add_f64_e32 v[0:1], v[2:3], v[0:1]
	v_fma_f64 v[2:3], v[45:46], s[8:9], v[137:138]
	s_delay_alu instid0(VALU_DEP_1) | instskip(NEXT) | instid1(VALU_DEP_1)
	v_add_f64_e32 v[2:3], v[13:14], v[2:3]
	v_add_f64_e32 v[2:3], v[68:69], v[2:3]
	v_fma_f64 v[68:69], v[47:48], s[20:21], -v[89:90]
	s_delay_alu instid0(VALU_DEP_1) | instskip(SKIP_3) | instid1(VALU_DEP_3)
	v_add_f64_e32 v[0:1], v[68:69], v[0:1]
	v_fma_f64 v[68:69], v[55:56], s[20:21], v[4:5]
	v_mul_f64_e32 v[4:5], s[34:35], v[23:24]
	v_mul_f64_e32 v[23:24], s[46:47], v[23:24]
	v_add_f64_e32 v[2:3], v[68:69], v[2:3]
	v_fma_f64 v[68:69], v[83:84], s[10:11], -v[91:92]
	scratch_store_b64 off, v[4:5], off offset:160 ; 8-byte Folded Spill
	v_add_f64_e32 v[0:1], v[68:69], v[0:1]
	v_fma_f64 v[68:69], v[57:58], s[10:11], v[4:5]
	v_mul_f64_e32 v[4:5], s[56:57], v[27:28]
	v_mul_f64_e32 v[27:28], s[28:29], v[27:28]
	s_delay_alu instid0(VALU_DEP_3)
	v_add_f64_e32 v[2:3], v[68:69], v[2:3]
	v_fma_f64 v[68:69], v[51:52], s[12:13], -v[93:94]
	scratch_store_b64 off, v[4:5], off offset:152 ; 8-byte Folded Spill
	v_add_f64_e32 v[0:1], v[68:69], v[0:1]
	v_fma_f64 v[68:69], v[59:60], s[12:13], v[4:5]
	v_mul_f64_e32 v[4:5], s[52:53], v[31:32]
	v_mul_f64_e32 v[31:32], s[42:43], v[31:32]
	s_delay_alu instid0(VALU_DEP_3)
	v_add_f64_e32 v[2:3], v[68:69], v[2:3]
	v_fma_f64 v[68:69], v[73:74], s[22:23], -v[99:100]
	scratch_store_b64 off, v[4:5], off offset:144 ; 8-byte Folded Spill
	v_add_f64_e32 v[0:1], v[68:69], v[0:1]
	v_fma_f64 v[68:69], v[61:62], s[22:23], v[4:5]
	v_mul_f64_e32 v[4:5], s[42:43], v[35:36]
	s_delay_alu instid0(VALU_DEP_2) | instskip(SKIP_3) | instid1(VALU_DEP_2)
	v_add_f64_e32 v[2:3], v[68:69], v[2:3]
	scratch_store_b64 off, v[4:5], off offset:136 ; 8-byte Folded Spill
	v_fma_f64 v[68:69], v[63:64], s[14:15], -v[4:5]
	v_mul_f64_e32 v[4:5], s[42:43], v[43:44]
	v_add_f64_e32 v[0:1], v[68:69], v[0:1]
	scratch_store_b64 off, v[4:5], off offset:120 ; 8-byte Folded Spill
	v_fma_f64 v[68:69], v[65:66], s[14:15], v[4:5]
	v_mul_f64_e32 v[4:5], s[44:45], v[39:40]
	s_delay_alu instid0(VALU_DEP_2) | instskip(NEXT) | instid1(VALU_DEP_2)
	v_add_f64_e32 v[2:3], v[68:69], v[2:3]
	v_fma_f64 v[68:69], v[75:76], s[0:1], -v[4:5]
	s_delay_alu instid0(VALU_DEP_1)
	v_add_f64_e32 v[70:71], v[68:69], v[0:1]
	v_mul_f64_e32 v[0:1], s[44:45], v[37:38]
	s_clause 0x1
	scratch_store_b64 off, v[4:5], off offset:112
	scratch_store_b64 off, v[0:1], off offset:96
	v_fma_f64 v[0:1], v[77:78], s[0:1], v[0:1]
	s_delay_alu instid0(VALU_DEP_1) | instskip(SKIP_1) | instid1(VALU_DEP_1)
	v_add_f64_e32 v[68:69], v[0:1], v[2:3]
	v_add_nc_u32_e32 v2, 34, v67
	v_mad_co_u64_u32 v[0:1], null, s4, v2, 0
	s_delay_alu instid0(VALU_DEP_1) | instskip(SKIP_1) | instid1(VALU_DEP_2)
	v_mad_co_u64_u32 v[1:2], null, s5, v2, v[1:2]
	v_fma_f64 v[2:3], v[49:50], s[20:21], -v[117:118]
	v_lshlrev_b64_e32 v[0:1], 4, v[0:1]
	s_delay_alu instid0(VALU_DEP_1) | instskip(SKIP_1) | instid1(VALU_DEP_2)
	v_add_co_u32 v0, vcc_lo, v12, v0
	s_wait_alu 0xfffd
	v_add_co_ci_u32_e32 v1, vcc_lo, v255, v1, vcc_lo
	global_store_b128 v[0:1], v[68:71], off
	v_fma_f64 v[0:1], v[41:42], s[14:15], -v[159:160]
	v_fma_f64 v[68:69], v[53:54], s[20:21], v[119:120]
	s_delay_alu instid0(VALU_DEP_2) | instskip(NEXT) | instid1(VALU_DEP_1)
	v_add_f64_e32 v[0:1], v[15:16], v[0:1]
	v_add_f64_e32 v[0:1], v[2:3], v[0:1]
	v_fma_f64 v[2:3], v[45:46], s[14:15], v[161:162]
	s_delay_alu instid0(VALU_DEP_1) | instskip(NEXT) | instid1(VALU_DEP_1)
	v_add_f64_e32 v[2:3], v[13:14], v[2:3]
	v_add_f64_e32 v[2:3], v[68:69], v[2:3]
	v_fma_f64 v[68:69], v[47:48], s[10:11], -v[121:122]
	s_delay_alu instid0(VALU_DEP_1) | instskip(SKIP_1) | instid1(VALU_DEP_1)
	v_add_f64_e32 v[0:1], v[68:69], v[0:1]
	v_fma_f64 v[68:69], v[55:56], s[10:11], v[115:116]
	v_add_f64_e32 v[2:3], v[68:69], v[2:3]
	v_fma_f64 v[68:69], v[83:84], s[22:23], -v[123:124]
	s_delay_alu instid0(VALU_DEP_1) | instskip(SKIP_1) | instid1(VALU_DEP_1)
	v_add_f64_e32 v[0:1], v[68:69], v[0:1]
	v_fma_f64 v[68:69], v[57:58], s[22:23], v[113:114]
	;; [unrolled: 5-line block ×6, first 2 shown]
	v_add_f64_e32 v[68:69], v[0:1], v[2:3]
	v_add_nc_u32_e32 v2, 51, v67
	s_delay_alu instid0(VALU_DEP_1) | instskip(NEXT) | instid1(VALU_DEP_1)
	v_mad_co_u64_u32 v[0:1], null, s4, v2, 0
	v_mad_co_u64_u32 v[1:2], null, s5, v2, v[1:2]
	v_fma_f64 v[2:3], v[49:50], s[10:11], -v[149:150]
	s_delay_alu instid0(VALU_DEP_2) | instskip(NEXT) | instid1(VALU_DEP_1)
	v_lshlrev_b64_e32 v[0:1], 4, v[0:1]
	v_add_co_u32 v0, vcc_lo, v12, v0
	s_wait_alu 0xfffd
	s_delay_alu instid0(VALU_DEP_2) | instskip(SKIP_3) | instid1(VALU_DEP_2)
	v_add_co_ci_u32_e32 v1, vcc_lo, v255, v1, vcc_lo
	global_store_b128 v[0:1], v[68:71], off
	v_fma_f64 v[0:1], v[41:42], s[18:19], -v[165:166]
	v_fma_f64 v[68:69], v[53:54], s[10:11], v[151:152]
	v_add_f64_e32 v[0:1], v[15:16], v[0:1]
	s_delay_alu instid0(VALU_DEP_1) | instskip(SKIP_1) | instid1(VALU_DEP_1)
	v_add_f64_e32 v[0:1], v[2:3], v[0:1]
	v_fma_f64 v[2:3], v[45:46], s[18:19], v[167:168]
	v_add_f64_e32 v[2:3], v[13:14], v[2:3]
	s_delay_alu instid0(VALU_DEP_1) | instskip(SKIP_1) | instid1(VALU_DEP_1)
	v_add_f64_e32 v[2:3], v[68:69], v[2:3]
	v_fma_f64 v[68:69], v[47:48], s[22:23], -v[153:154]
	v_add_f64_e32 v[0:1], v[68:69], v[0:1]
	v_fma_f64 v[68:69], v[55:56], s[22:23], v[147:148]
	s_delay_alu instid0(VALU_DEP_1) | instskip(SKIP_1) | instid1(VALU_DEP_1)
	v_add_f64_e32 v[2:3], v[68:69], v[2:3]
	v_fma_f64 v[68:69], v[83:84], s[0:1], -v[155:156]
	v_add_f64_e32 v[0:1], v[68:69], v[0:1]
	v_fma_f64 v[68:69], v[57:58], s[0:1], v[145:146]
	;; [unrolled: 5-line block ×6, first 2 shown]
	s_delay_alu instid0(VALU_DEP_1) | instskip(SKIP_1) | instid1(VALU_DEP_1)
	v_add_f64_e32 v[68:69], v[0:1], v[2:3]
	v_add_nc_u32_e32 v2, 0x44, v67
	v_mad_co_u64_u32 v[0:1], null, s4, v2, 0
	s_delay_alu instid0(VALU_DEP_1) | instskip(SKIP_1) | instid1(VALU_DEP_2)
	v_mad_co_u64_u32 v[1:2], null, s5, v2, v[1:2]
	v_fma_f64 v[2:3], v[49:50], s[12:13], -v[169:170]
	v_lshlrev_b64_e32 v[0:1], 4, v[0:1]
	s_delay_alu instid0(VALU_DEP_1) | instskip(SKIP_1) | instid1(VALU_DEP_2)
	v_add_co_u32 v0, vcc_lo, v12, v0
	s_wait_alu 0xfffd
	v_add_co_ci_u32_e32 v1, vcc_lo, v255, v1, vcc_lo
	global_store_b128 v[0:1], v[68:71], off
	v_fma_f64 v[0:1], v[41:42], s[22:23], -v[197:198]
	v_fma_f64 v[68:69], v[53:54], s[12:13], v[171:172]
	s_delay_alu instid0(VALU_DEP_2) | instskip(NEXT) | instid1(VALU_DEP_1)
	v_add_f64_e32 v[0:1], v[15:16], v[0:1]
	v_add_f64_e32 v[0:1], v[2:3], v[0:1]
	v_fma_f64 v[2:3], v[45:46], s[22:23], v[199:200]
	s_delay_alu instid0(VALU_DEP_1) | instskip(NEXT) | instid1(VALU_DEP_1)
	v_add_f64_e32 v[2:3], v[13:14], v[2:3]
	v_add_f64_e32 v[2:3], v[68:69], v[2:3]
	v_fma_f64 v[68:69], v[47:48], s[8:9], -v[173:174]
	s_delay_alu instid0(VALU_DEP_1) | instskip(SKIP_1) | instid1(VALU_DEP_1)
	v_add_f64_e32 v[0:1], v[68:69], v[0:1]
	v_fma_f64 v[68:69], v[55:56], s[8:9], v[175:176]
	v_add_f64_e32 v[2:3], v[68:69], v[2:3]
	v_fma_f64 v[68:69], v[83:84], s[14:15], -v[177:178]
	s_delay_alu instid0(VALU_DEP_1) | instskip(SKIP_1) | instid1(VALU_DEP_1)
	v_add_f64_e32 v[0:1], v[68:69], v[0:1]
	v_fma_f64 v[68:69], v[57:58], s[14:15], v[179:180]
	;; [unrolled: 5-line block ×6, first 2 shown]
	v_add_f64_e32 v[68:69], v[0:1], v[2:3]
	v_add_nc_u32_e32 v2, 0x55, v67
	s_delay_alu instid0(VALU_DEP_1) | instskip(NEXT) | instid1(VALU_DEP_1)
	v_mad_co_u64_u32 v[0:1], null, s4, v2, 0
	v_mad_co_u64_u32 v[1:2], null, s5, v2, v[1:2]
	v_fma_f64 v[2:3], v[49:50], s[22:23], -v[201:202]
	s_delay_alu instid0(VALU_DEP_2) | instskip(NEXT) | instid1(VALU_DEP_1)
	v_lshlrev_b64_e32 v[0:1], 4, v[0:1]
	v_add_co_u32 v0, vcc_lo, v12, v0
	s_wait_alu 0xfffd
	s_delay_alu instid0(VALU_DEP_2) | instskip(SKIP_3) | instid1(VALU_DEP_2)
	v_add_co_ci_u32_e32 v1, vcc_lo, v255, v1, vcc_lo
	global_store_b128 v[0:1], v[68:71], off
	v_fma_f64 v[0:1], v[41:42], s[20:21], -v[231:232]
	v_fma_f64 v[68:69], v[53:54], s[22:23], v[203:204]
	v_add_f64_e32 v[0:1], v[15:16], v[0:1]
	s_delay_alu instid0(VALU_DEP_1) | instskip(SKIP_1) | instid1(VALU_DEP_1)
	v_add_f64_e32 v[0:1], v[2:3], v[0:1]
	v_fma_f64 v[2:3], v[45:46], s[20:21], v[229:230]
	v_add_f64_e32 v[2:3], v[13:14], v[2:3]
	s_delay_alu instid0(VALU_DEP_1) | instskip(SKIP_1) | instid1(VALU_DEP_1)
	v_add_f64_e32 v[2:3], v[68:69], v[2:3]
	v_fma_f64 v[68:69], v[47:48], s[0:1], -v[205:206]
	v_add_f64_e32 v[0:1], v[68:69], v[0:1]
	v_fma_f64 v[68:69], v[55:56], s[0:1], v[207:208]
	s_delay_alu instid0(VALU_DEP_1) | instskip(SKIP_1) | instid1(VALU_DEP_1)
	v_add_f64_e32 v[2:3], v[68:69], v[2:3]
	v_fma_f64 v[68:69], v[83:84], s[12:13], -v[209:210]
	v_add_f64_e32 v[0:1], v[68:69], v[0:1]
	v_fma_f64 v[68:69], v[57:58], s[12:13], v[211:212]
	;; [unrolled: 5-line block ×6, first 2 shown]
	s_delay_alu instid0(VALU_DEP_1) | instskip(SKIP_1) | instid1(VALU_DEP_1)
	v_add_f64_e32 v[68:69], v[0:1], v[2:3]
	v_add_nc_u32_e32 v2, 0x66, v67
	v_mad_co_u64_u32 v[0:1], null, s4, v2, 0
	s_delay_alu instid0(VALU_DEP_1) | instskip(SKIP_1) | instid1(VALU_DEP_2)
	v_mad_co_u64_u32 v[1:2], null, s5, v2, v[1:2]
	v_fma_f64 v[2:3], v[49:50], s[14:15], -v[235:236]
	v_lshlrev_b64_e32 v[0:1], 4, v[0:1]
	s_delay_alu instid0(VALU_DEP_1) | instskip(SKIP_1) | instid1(VALU_DEP_2)
	v_add_co_u32 v0, vcc_lo, v12, v0
	s_wait_alu 0xfffd
	v_add_co_ci_u32_e32 v1, vcc_lo, v255, v1, vcc_lo
	global_store_b128 v[0:1], v[68:71], off
	v_fma_f64 v[0:1], v[41:42], s[12:13], -v[233:234]
	v_fma_f64 v[68:69], v[53:54], s[14:15], v[241:242]
	v_mul_f64_e32 v[70:71], s[26:27], v[39:40]
	v_mul_f64_e32 v[39:40], s[50:51], v[39:40]
	s_delay_alu instid0(VALU_DEP_4) | instskip(NEXT) | instid1(VALU_DEP_1)
	v_add_f64_e32 v[0:1], v[15:16], v[0:1]
	v_add_f64_e32 v[0:1], v[2:3], v[0:1]
	v_fma_f64 v[2:3], v[45:46], s[12:13], v[237:238]
	s_delay_alu instid0(VALU_DEP_1) | instskip(NEXT) | instid1(VALU_DEP_1)
	v_add_f64_e32 v[2:3], v[13:14], v[2:3]
	v_add_f64_e32 v[2:3], v[68:69], v[2:3]
	v_fma_f64 v[68:69], v[47:48], s[18:19], -v[239:240]
	s_delay_alu instid0(VALU_DEP_1) | instskip(SKIP_1) | instid1(VALU_DEP_1)
	v_add_f64_e32 v[0:1], v[68:69], v[0:1]
	v_fma_f64 v[68:69], v[55:56], s[18:19], v[243:244]
	v_add_f64_e32 v[2:3], v[68:69], v[2:3]
	v_fma_f64 v[68:69], v[83:84], s[20:21], -v[245:246]
	s_delay_alu instid0(VALU_DEP_1) | instskip(SKIP_1) | instid1(VALU_DEP_1)
	v_add_f64_e32 v[0:1], v[68:69], v[0:1]
	v_fma_f64 v[68:69], v[57:58], s[20:21], v[247:248]
	;; [unrolled: 5-line block ×5, first 2 shown]
	v_add_f64_e32 v[4:5], v[68:69], v[2:3]
	v_fma_f64 v[2:3], v[75:76], s[22:23], -v[70:71]
	v_mul_f64_e32 v[68:69], s[26:27], v[37:38]
	v_mul_f64_e32 v[37:38], s[50:51], v[37:38]
	s_delay_alu instid0(VALU_DEP_3) | instskip(NEXT) | instid1(VALU_DEP_3)
	v_add_f64_e32 v[2:3], v[2:3], v[0:1]
	v_fma_f64 v[0:1], v[77:78], s[22:23], v[68:69]
	s_delay_alu instid0(VALU_DEP_1) | instskip(SKIP_1) | instid1(VALU_DEP_1)
	v_add_f64_e32 v[0:1], v[0:1], v[4:5]
	v_mad_co_u64_u32 v[4:5], null, s4, v72, 0
	v_mad_co_u64_u32 v[87:88], null, s5, v72, v[5:6]
	v_mul_f64_e32 v[6:7], s[34:35], v[6:7]
	s_delay_alu instid0(VALU_DEP_2) | instskip(NEXT) | instid1(VALU_DEP_1)
	v_dual_mov_b32 v5, v87 :: v_dual_add_nc_u32 v72, 0x88, v67
	v_lshlrev_b64_e32 v[4:5], 4, v[4:5]
	s_delay_alu instid0(VALU_DEP_1) | instskip(SKIP_1) | instid1(VALU_DEP_2)
	v_add_co_u32 v4, vcc_lo, v12, v4
	s_wait_alu 0xfffd
	v_add_co_ci_u32_e32 v5, vcc_lo, v255, v5, vcc_lo
	global_store_b128 v[4:5], v[0:3], off
	v_mul_f64_e32 v[4:5], s[34:35], v[10:11]
	v_fma_f64 v[2:3], v[49:50], s[0:1], -v[8:9]
	v_mul_f64_e32 v[10:11], s[44:45], v[17:18]
	s_delay_alu instid0(VALU_DEP_3) | instskip(NEXT) | instid1(VALU_DEP_2)
	v_fma_f64 v[0:1], v[41:42], s[10:11], -v[4:5]
	v_fma_f64 v[17:18], v[53:54], s[0:1], v[10:11]
	s_delay_alu instid0(VALU_DEP_2) | instskip(NEXT) | instid1(VALU_DEP_1)
	v_add_f64_e32 v[0:1], v[15:16], v[0:1]
	v_add_f64_e32 v[0:1], v[2:3], v[0:1]
	v_fma_f64 v[2:3], v[45:46], s[10:11], v[6:7]
	s_delay_alu instid0(VALU_DEP_1) | instskip(NEXT) | instid1(VALU_DEP_1)
	v_add_f64_e32 v[2:3], v[13:14], v[2:3]
	v_add_f64_e32 v[2:3], v[17:18], v[2:3]
	v_mul_f64_e32 v[17:18], s[30:31], v[21:22]
	s_delay_alu instid0(VALU_DEP_1) | instskip(NEXT) | instid1(VALU_DEP_1)
	v_fma_f64 v[21:22], v[47:48], s[12:13], -v[17:18]
	v_add_f64_e32 v[0:1], v[21:22], v[0:1]
	v_fma_f64 v[21:22], v[55:56], s[12:13], v[19:20]
	s_delay_alu instid0(VALU_DEP_1) | instskip(SKIP_1) | instid1(VALU_DEP_1)
	v_add_f64_e32 v[2:3], v[21:22], v[2:3]
	v_mul_f64_e32 v[21:22], s[46:47], v[25:26]
	v_fma_f64 v[25:26], v[83:84], s[8:9], -v[21:22]
	s_delay_alu instid0(VALU_DEP_1) | instskip(SKIP_1) | instid1(VALU_DEP_1)
	v_add_f64_e32 v[0:1], v[25:26], v[0:1]
	v_fma_f64 v[25:26], v[57:58], s[8:9], v[23:24]
	v_add_f64_e32 v[2:3], v[25:26], v[2:3]
	v_mul_f64_e32 v[25:26], s[28:29], v[29:30]
	s_delay_alu instid0(VALU_DEP_1) | instskip(NEXT) | instid1(VALU_DEP_1)
	v_fma_f64 v[29:30], v[51:52], s[20:21], -v[25:26]
	v_add_f64_e32 v[0:1], v[29:30], v[0:1]
	v_fma_f64 v[29:30], v[59:60], s[20:21], v[27:28]
	s_delay_alu instid0(VALU_DEP_1) | instskip(SKIP_1) | instid1(VALU_DEP_1)
	v_add_f64_e32 v[2:3], v[29:30], v[2:3]
	v_mul_f64_e32 v[29:30], s[42:43], v[33:34]
	v_fma_f64 v[33:34], v[73:74], s[14:15], -v[29:30]
	s_delay_alu instid0(VALU_DEP_1) | instskip(SKIP_1) | instid1(VALU_DEP_1)
	v_add_f64_e32 v[0:1], v[33:34], v[0:1]
	v_fma_f64 v[33:34], v[61:62], s[14:15], v[31:32]
	v_add_f64_e32 v[2:3], v[33:34], v[2:3]
	v_mul_f64_e32 v[33:34], s[26:27], v[35:36]
	s_delay_alu instid0(VALU_DEP_1) | instskip(NEXT) | instid1(VALU_DEP_1)
	v_fma_f64 v[35:36], v[63:64], s[22:23], -v[33:34]
	v_add_f64_e32 v[0:1], v[35:36], v[0:1]
	v_mul_f64_e32 v[35:36], s[26:27], v[43:44]
	s_delay_alu instid0(VALU_DEP_1) | instskip(NEXT) | instid1(VALU_DEP_1)
	v_fma_f64 v[43:44], v[65:66], s[22:23], v[35:36]
	v_add_f64_e32 v[43:44], v[43:44], v[2:3]
	v_fma_f64 v[2:3], v[75:76], s[18:19], -v[39:40]
	s_delay_alu instid0(VALU_DEP_1) | instskip(SKIP_1) | instid1(VALU_DEP_1)
	v_add_f64_e32 v[2:3], v[2:3], v[0:1]
	v_fma_f64 v[0:1], v[77:78], s[18:19], v[37:38]
	v_add_f64_e32 v[0:1], v[0:1], v[43:44]
	v_mad_co_u64_u32 v[43:44], null, s4, v72, 0
	s_delay_alu instid0(VALU_DEP_1) | instskip(NEXT) | instid1(VALU_DEP_1)
	v_mad_co_u64_u32 v[87:88], null, s5, v72, v[44:45]
	v_mov_b32_e32 v44, v87
	v_fma_f64 v[87:88], v[53:54], s[20:21], -v[119:120]
	s_delay_alu instid0(VALU_DEP_2) | instskip(NEXT) | instid1(VALU_DEP_1)
	v_lshlrev_b64_e32 v[43:44], 4, v[43:44]
	v_add_co_u32 v43, vcc_lo, v12, v43
	s_wait_alu 0xfffd
	s_delay_alu instid0(VALU_DEP_2)
	v_add_co_ci_u32_e32 v44, vcc_lo, v255, v44, vcc_lo
	global_store_b128 v[43:44], v[0:3], off
	v_fma_f64 v[0:1], v[41:42], s[10:11], v[4:5]
	v_fma_f64 v[2:3], v[49:50], s[0:1], v[8:9]
	v_fma_f64 v[4:5], v[53:54], s[0:1], -v[10:11]
	v_fma_f64 v[8:9], v[41:42], s[8:9], v[135:136]
	v_fma_f64 v[10:11], v[41:42], s[0:1], v[105:106]
	;; [unrolled: 1-line block ×3, first 2 shown]
	v_add_f64_e32 v[0:1], v[15:16], v[0:1]
	s_delay_alu instid0(VALU_DEP_4) | instskip(NEXT) | instid1(VALU_DEP_4)
	v_add_f64_e32 v[8:9], v[15:16], v[8:9]
	v_add_f64_e32 v[10:11], v[15:16], v[10:11]
	s_delay_alu instid0(VALU_DEP_3) | instskip(SKIP_3) | instid1(VALU_DEP_3)
	v_add_f64_e32 v[0:1], v[2:3], v[0:1]
	v_fma_f64 v[2:3], v[45:46], s[10:11], -v[6:7]
	v_fma_f64 v[6:7], v[77:78], s[18:19], -v[37:38]
	v_fma_f64 v[37:38], v[51:52], s[12:13], v[93:94]
	v_add_f64_e32 v[2:3], v[13:14], v[2:3]
	s_delay_alu instid0(VALU_DEP_1) | instskip(SKIP_2) | instid1(VALU_DEP_2)
	v_add_f64_e32 v[2:3], v[4:5], v[2:3]
	v_fma_f64 v[4:5], v[47:48], s[12:13], v[17:18]
	v_fma_f64 v[17:18], v[45:46], s[20:21], -v[229:230]
	v_add_f64_e32 v[0:1], v[4:5], v[0:1]
	v_fma_f64 v[4:5], v[55:56], s[12:13], -v[19:20]
	s_delay_alu instid0(VALU_DEP_3) | instskip(SKIP_1) | instid1(VALU_DEP_3)
	v_add_f64_e32 v[17:18], v[13:14], v[17:18]
	v_fma_f64 v[19:20], v[45:46], s[22:23], -v[199:200]
	v_add_f64_e32 v[2:3], v[4:5], v[2:3]
	v_fma_f64 v[4:5], v[83:84], s[8:9], v[21:22]
	v_fma_f64 v[21:22], v[45:46], s[18:19], -v[167:168]
	s_delay_alu instid0(VALU_DEP_4) | instskip(NEXT) | instid1(VALU_DEP_3)
	v_add_f64_e32 v[19:20], v[13:14], v[19:20]
	v_add_f64_e32 v[0:1], v[4:5], v[0:1]
	v_fma_f64 v[4:5], v[57:58], s[8:9], -v[23:24]
	v_fma_f64 v[23:24], v[45:46], s[14:15], -v[161:162]
	v_add_f64_e32 v[21:22], v[13:14], v[21:22]
	s_delay_alu instid0(VALU_DEP_3) | instskip(SKIP_3) | instid1(VALU_DEP_3)
	v_add_f64_e32 v[2:3], v[4:5], v[2:3]
	v_fma_f64 v[4:5], v[51:52], s[20:21], v[25:26]
	v_fma_f64 v[25:26], v[45:46], s[8:9], -v[137:138]
	v_add_f64_e32 v[23:24], v[13:14], v[23:24]
	v_add_f64_e32 v[0:1], v[4:5], v[0:1]
	v_fma_f64 v[4:5], v[59:60], s[20:21], -v[27:28]
	v_fma_f64 v[27:28], v[45:46], s[0:1], -v[107:108]
	v_add_f64_e32 v[25:26], v[13:14], v[25:26]
	v_add_f64_e32 v[23:24], v[87:88], v[23:24]
	s_delay_alu instid0(VALU_DEP_4) | instskip(SKIP_1) | instid1(VALU_DEP_1)
	v_add_f64_e32 v[2:3], v[4:5], v[2:3]
	v_fma_f64 v[4:5], v[73:74], s[14:15], v[29:30]
	v_add_f64_e32 v[0:1], v[4:5], v[0:1]
	v_fma_f64 v[4:5], v[61:62], s[14:15], -v[31:32]
	s_delay_alu instid0(VALU_DEP_1) | instskip(SKIP_1) | instid1(VALU_DEP_1)
	v_add_f64_e32 v[2:3], v[4:5], v[2:3]
	v_fma_f64 v[4:5], v[63:64], s[22:23], v[33:34]
	v_add_f64_e32 v[0:1], v[4:5], v[0:1]
	v_fma_f64 v[4:5], v[65:66], s[22:23], -v[35:36]
	v_fma_f64 v[35:36], v[51:52], s[8:9], v[125:126]
	s_delay_alu instid0(VALU_DEP_2)
	v_add_f64_e32 v[4:5], v[4:5], v[2:3]
	v_fma_f64 v[2:3], v[75:76], s[18:19], v[39:40]
	scratch_load_b64 v[39:40], off, off offset:104 th:TH_LOAD_LU ; 8-byte Folded Reload
	v_add_f64_e32 v[2:3], v[2:3], v[0:1]
	v_add_f64_e32 v[0:1], v[6:7], v[4:5]
	v_add_nc_u32_e32 v6, 0x99, v67
	s_delay_alu instid0(VALU_DEP_1) | instskip(NEXT) | instid1(VALU_DEP_1)
	v_mad_co_u64_u32 v[4:5], null, s4, v6, 0
	v_mad_co_u64_u32 v[5:6], null, s5, v6, v[5:6]
	v_fma_f64 v[6:7], v[77:78], s[22:23], -v[68:69]
	v_fma_f64 v[68:69], v[47:48], s[22:23], v[153:154]
	s_delay_alu instid0(VALU_DEP_3) | instskip(NEXT) | instid1(VALU_DEP_1)
	v_lshlrev_b64_e32 v[4:5], 4, v[4:5]
	v_add_co_u32 v4, vcc_lo, v12, v4
	s_wait_alu 0xfffd
	s_delay_alu instid0(VALU_DEP_2) | instskip(SKIP_4) | instid1(VALU_DEP_3)
	v_add_co_ci_u32_e32 v5, vcc_lo, v255, v5, vcc_lo
	global_store_b128 v[4:5], v[0:3], off
	v_fma_f64 v[0:1], v[41:42], s[12:13], v[233:234]
	v_fma_f64 v[2:3], v[49:50], s[14:15], v[235:236]
	v_fma_f64 v[4:5], v[53:54], s[14:15], -v[241:242]
	v_add_f64_e32 v[0:1], v[15:16], v[0:1]
	s_delay_alu instid0(VALU_DEP_1)
	v_add_f64_e32 v[0:1], v[2:3], v[0:1]
	v_fma_f64 v[2:3], v[45:46], s[12:13], -v[237:238]
	v_fma_f64 v[45:46], v[83:84], s[10:11], v[91:92]
	scratch_load_b64 v[91:92], off, off offset:72 th:TH_LOAD_LU ; 8-byte Folded Reload
	v_add_f64_e32 v[2:3], v[13:14], v[2:3]
	v_add_f64_e32 v[13:14], v[13:14], v[27:28]
	scratch_load_b64 v[27:28], off, off offset:128 th:TH_LOAD_LU ; 8-byte Folded Reload
	v_add_f64_e32 v[2:3], v[4:5], v[2:3]
	v_fma_f64 v[4:5], v[47:48], s[18:19], v[239:240]
	s_delay_alu instid0(VALU_DEP_1) | instskip(SKIP_1) | instid1(VALU_DEP_1)
	v_add_f64_e32 v[0:1], v[4:5], v[0:1]
	v_fma_f64 v[4:5], v[55:56], s[18:19], -v[243:244]
	v_add_f64_e32 v[2:3], v[4:5], v[2:3]
	v_fma_f64 v[4:5], v[83:84], s[20:21], v[245:246]
	s_wait_loadcnt 0x2
	v_fma_f64 v[39:40], v[51:52], s[22:23], v[39:40]
	s_delay_alu instid0(VALU_DEP_2) | instskip(SKIP_1) | instid1(VALU_DEP_1)
	v_add_f64_e32 v[0:1], v[4:5], v[0:1]
	v_fma_f64 v[4:5], v[57:58], s[20:21], -v[247:248]
	v_add_f64_e32 v[2:3], v[4:5], v[2:3]
	v_fma_f64 v[4:5], v[51:52], s[0:1], v[249:250]
	s_delay_alu instid0(VALU_DEP_1) | instskip(SKIP_1) | instid1(VALU_DEP_1)
	v_add_f64_e32 v[0:1], v[4:5], v[0:1]
	v_fma_f64 v[4:5], v[59:60], s[0:1], -v[251:252]
	v_add_f64_e32 v[2:3], v[4:5], v[2:3]
	v_fma_f64 v[4:5], v[73:74], s[10:11], v[253:254]
	s_delay_alu instid0(VALU_DEP_1)
	v_add_f64_e32 v[0:1], v[4:5], v[0:1]
	v_fma_f64 v[4:5], v[61:62], s[10:11], -v[85:86]
	scratch_load_b64 v[85:86], off, off offset:64 th:TH_LOAD_LU ; 8-byte Folded Reload
	s_wait_loadcnt 0x1
	v_fma_f64 v[27:28], v[73:74], s[20:21], v[27:28]
	v_add_f64_e32 v[2:3], v[4:5], v[2:3]
	v_fma_f64 v[4:5], v[63:64], s[8:9], v[81:82]
	v_fma_f64 v[81:82], v[49:50], s[20:21], v[117:118]
	s_delay_alu instid0(VALU_DEP_2)
	v_add_f64_e32 v[0:1], v[4:5], v[0:1]
	v_fma_f64 v[4:5], v[65:66], s[8:9], -v[79:80]
	scratch_load_b64 v[79:80], off, off offset:80 th:TH_LOAD_LU ; 8-byte Folded Reload
	v_add_f64_e32 v[4:5], v[4:5], v[2:3]
	v_fma_f64 v[2:3], v[75:76], s[22:23], v[70:71]
	v_fma_f64 v[70:71], v[47:48], s[10:11], v[121:122]
	s_delay_alu instid0(VALU_DEP_2) | instskip(NEXT) | instid1(VALU_DEP_4)
	v_add_f64_e32 v[2:3], v[2:3], v[0:1]
	v_add_f64_e32 v[0:1], v[6:7], v[4:5]
	v_add_nc_u32_e32 v6, 0xaa, v67
	s_delay_alu instid0(VALU_DEP_1) | instskip(NEXT) | instid1(VALU_DEP_1)
	v_mad_co_u64_u32 v[4:5], null, s4, v6, 0
	v_mad_co_u64_u32 v[5:6], null, s5, v6, v[5:6]
	v_fma_f64 v[6:7], v[41:42], s[14:15], v[159:160]
	s_delay_alu instid0(VALU_DEP_2) | instskip(NEXT) | instid1(VALU_DEP_1)
	v_lshlrev_b64_e32 v[4:5], 4, v[4:5]
	v_add_co_u32 v4, vcc_lo, v12, v4
	s_wait_alu 0xfffd
	s_delay_alu instid0(VALU_DEP_2)
	v_add_co_ci_u32_e32 v5, vcc_lo, v255, v5, vcc_lo
	global_store_b128 v[4:5], v[0:3], off
	v_fma_f64 v[0:1], v[41:42], s[20:21], v[231:232]
	v_fma_f64 v[2:3], v[41:42], s[22:23], v[197:198]
	;; [unrolled: 1-line block ×4, first 2 shown]
	v_add_f64_e32 v[33:34], v[15:16], v[6:7]
	v_fma_f64 v[6:7], v[77:78], s[14:15], -v[227:228]
	v_add_f64_e32 v[0:1], v[15:16], v[0:1]
	v_add_f64_e32 v[29:30], v[15:16], v[2:3]
	v_fma_f64 v[2:3], v[49:50], s[22:23], v[201:202]
	v_add_f64_e32 v[31:32], v[15:16], v[4:5]
	v_fma_f64 v[4:5], v[47:48], s[0:1], v[205:206]
	v_fma_f64 v[15:16], v[47:48], s[8:9], v[173:174]
	v_add_f64_e32 v[33:34], v[81:82], v[33:34]
	v_fma_f64 v[81:82], v[55:56], s[10:11], -v[115:116]
	v_add_f64_e32 v[0:1], v[2:3], v[0:1]
	v_fma_f64 v[2:3], v[53:54], s[22:23], -v[203:204]
	s_delay_alu instid0(VALU_DEP_4) | instskip(NEXT) | instid1(VALU_DEP_4)
	v_add_f64_e32 v[33:34], v[70:71], v[33:34]
	v_add_f64_e32 v[23:24], v[81:82], v[23:24]
	scratch_load_b64 v[70:71], off, off offset:48 th:TH_LOAD_LU ; 8-byte Folded Reload
	v_add_f64_e32 v[0:1], v[4:5], v[0:1]
	v_add_f64_e32 v[2:3], v[2:3], v[17:18]
	v_fma_f64 v[4:5], v[55:56], s[0:1], -v[207:208]
	v_fma_f64 v[17:18], v[77:78], s[20:21], -v[195:196]
	v_add_f64_e32 v[33:34], v[43:44], v[33:34]
	v_fma_f64 v[43:44], v[59:60], s[8:9], -v[111:112]
	s_delay_alu instid0(VALU_DEP_4) | instskip(SKIP_1) | instid1(VALU_DEP_1)
	v_add_f64_e32 v[2:3], v[4:5], v[2:3]
	v_fma_f64 v[4:5], v[83:84], s[12:13], v[209:210]
	v_add_f64_e32 v[0:1], v[4:5], v[0:1]
	v_fma_f64 v[4:5], v[57:58], s[12:13], -v[211:212]
	s_delay_alu instid0(VALU_DEP_1) | instskip(SKIP_1) | instid1(VALU_DEP_1)
	v_add_f64_e32 v[2:3], v[4:5], v[2:3]
	v_fma_f64 v[4:5], v[51:52], s[18:19], v[213:214]
	v_add_f64_e32 v[0:1], v[4:5], v[0:1]
	v_fma_f64 v[4:5], v[59:60], s[18:19], -v[215:216]
	s_delay_alu instid0(VALU_DEP_1) | instskip(SKIP_1) | instid1(VALU_DEP_1)
	;; [unrolled: 5-line block ×4, first 2 shown]
	v_add_f64_e32 v[4:5], v[4:5], v[2:3]
	v_fma_f64 v[2:3], v[75:76], s[14:15], v[225:226]
	v_add_f64_e32 v[2:3], v[2:3], v[0:1]
	s_delay_alu instid0(VALU_DEP_3) | instskip(SKIP_2) | instid1(VALU_DEP_2)
	v_add_f64_e32 v[0:1], v[6:7], v[4:5]
	v_fma_f64 v[4:5], v[49:50], s[12:13], v[169:170]
	v_fma_f64 v[6:7], v[53:54], s[12:13], -v[171:172]
	v_add_f64_e32 v[4:5], v[4:5], v[29:30]
	s_delay_alu instid0(VALU_DEP_2) | instskip(SKIP_2) | instid1(VALU_DEP_4)
	v_add_f64_e32 v[6:7], v[6:7], v[19:20]
	v_fma_f64 v[29:30], v[51:52], s[14:15], v[157:158]
	v_fma_f64 v[19:20], v[73:74], s[22:23], v[99:100]
	v_add_f64_e32 v[4:5], v[15:16], v[4:5]
	v_fma_f64 v[15:16], v[55:56], s[8:9], -v[175:176]
	s_delay_alu instid0(VALU_DEP_1) | instskip(SKIP_1) | instid1(VALU_DEP_1)
	v_add_f64_e32 v[6:7], v[15:16], v[6:7]
	v_fma_f64 v[15:16], v[83:84], s[14:15], v[177:178]
	v_add_f64_e32 v[4:5], v[15:16], v[4:5]
	v_fma_f64 v[15:16], v[57:58], s[14:15], -v[179:180]
	s_delay_alu instid0(VALU_DEP_1) | instskip(SKIP_4) | instid1(VALU_DEP_1)
	v_add_f64_e32 v[6:7], v[15:16], v[6:7]
	v_fma_f64 v[15:16], v[51:52], s[10:11], v[181:182]
	scratch_load_b64 v[51:52], off, off offset:88 th:TH_LOAD_LU ; 8-byte Folded Reload
	v_add_f64_e32 v[4:5], v[15:16], v[4:5]
	v_fma_f64 v[15:16], v[59:60], s[10:11], -v[183:184]
	v_add_f64_e32 v[6:7], v[15:16], v[6:7]
	v_fma_f64 v[15:16], v[73:74], s[18:19], v[185:186]
	s_delay_alu instid0(VALU_DEP_1) | instskip(SKIP_1) | instid1(VALU_DEP_1)
	v_add_f64_e32 v[4:5], v[15:16], v[4:5]
	v_fma_f64 v[15:16], v[61:62], s[18:19], -v[187:188]
	v_add_f64_e32 v[6:7], v[15:16], v[6:7]
	v_fma_f64 v[15:16], v[63:64], s[0:1], v[189:190]
	s_delay_alu instid0(VALU_DEP_1) | instskip(SKIP_1) | instid1(VALU_DEP_1)
	v_add_f64_e32 v[4:5], v[15:16], v[4:5]
	v_fma_f64 v[15:16], v[65:66], s[0:1], -v[191:192]
	v_add_f64_e32 v[15:16], v[15:16], v[6:7]
	v_fma_f64 v[6:7], v[75:76], s[20:21], v[193:194]
	s_delay_alu instid0(VALU_DEP_1) | instskip(NEXT) | instid1(VALU_DEP_3)
	v_add_f64_e32 v[6:7], v[6:7], v[4:5]
	v_add_f64_e32 v[4:5], v[17:18], v[15:16]
	v_fma_f64 v[15:16], v[73:74], s[12:13], v[163:164]
	v_fma_f64 v[17:18], v[73:74], s[0:1], v[131:132]
	;; [unrolled: 1-line block ×3, first 2 shown]
	s_wait_loadcnt 0x2
	v_fma_f64 v[47:48], v[47:48], s[14:15], v[79:80]
	v_fma_f64 v[79:80], v[49:50], s[10:11], v[149:150]
	scratch_load_b64 v[89:90], off, off offset:184 th:TH_LOAD_LU ; 8-byte Folded Reload
	v_add_f64_e32 v[31:32], v[79:80], v[31:32]
	v_fma_f64 v[79:80], v[55:56], s[22:23], -v[147:148]
	s_wait_loadcnt 0x1
	v_fma_f64 v[51:52], v[83:84], s[18:19], v[51:52]
	scratch_load_b64 v[83:84], off, off offset:176 th:TH_LOAD_LU ; 8-byte Folded Reload
	v_add_f64_e32 v[31:32], v[68:69], v[31:32]
	scratch_load_b64 v[68:69], off, off offset:160 th:TH_LOAD_LU ; 8-byte Folded Reload
	v_add_f64_e32 v[31:32], v[41:42], v[31:32]
	v_fma_f64 v[41:42], v[59:60], s[14:15], -v[143:144]
	s_delay_alu instid0(VALU_DEP_2) | instskip(SKIP_3) | instid1(VALU_DEP_4)
	v_add_f64_e32 v[29:30], v[29:30], v[31:32]
	v_add_f64_e32 v[31:32], v[35:36], v[33:34]
	v_fma_f64 v[35:36], v[61:62], s[0:1], -v[109:110]
	v_fma_f64 v[33:34], v[61:62], s[12:13], -v[141:142]
	v_add_f64_e32 v[15:16], v[15:16], v[29:30]
	s_delay_alu instid0(VALU_DEP_4) | instskip(SKIP_4) | instid1(VALU_DEP_1)
	v_add_f64_e32 v[17:18], v[17:18], v[31:32]
	v_fma_f64 v[29:30], v[65:66], s[18:19], -v[101:102]
	scratch_load_b64 v[31:32], off, off offset:120 th:TH_LOAD_LU ; 8-byte Folded Reload
	s_wait_loadcnt 0x3
	v_fma_f64 v[89:90], v[53:54], s[18:19], -v[89:90]
	v_add_f64_e32 v[25:26], v[89:90], v[25:26]
	s_wait_loadcnt 0x2
	v_fma_f64 v[83:84], v[49:50], s[18:19], v[83:84]
	v_fma_f64 v[49:50], v[49:50], s[8:9], v[85:86]
	v_fma_f64 v[85:86], v[53:54], s[10:11], -v[151:152]
	v_fma_f64 v[53:54], v[53:54], s[8:9], -v[91:92]
	s_delay_alu instid0(VALU_DEP_4)
	v_add_f64_e32 v[8:9], v[83:84], v[8:9]
	scratch_load_b64 v[83:84], off, off offset:168 th:TH_LOAD_LU ; 8-byte Folded Reload
	v_add_f64_e32 v[21:22], v[85:86], v[21:22]
	scratch_load_b64 v[85:86], off, off offset:56 th:TH_LOAD_LU ; 8-byte Folded Reload
	v_add_f64_e32 v[10:11], v[49:50], v[10:11]
	v_fma_f64 v[49:50], v[57:58], s[0:1], -v[145:146]
	v_add_f64_e32 v[13:14], v[53:54], v[13:14]
	v_fma_f64 v[53:54], v[57:58], s[22:23], -v[113:114]
	v_add_f64_e32 v[8:9], v[72:73], v[8:9]
	v_add_f64_e32 v[21:22], v[79:80], v[21:22]
	;; [unrolled: 1-line block ×3, first 2 shown]
	scratch_load_b64 v[47:48], off, off offset:40 th:TH_LOAD_LU ; 8-byte Folded Reload
	v_add_f64_e32 v[23:24], v[53:54], v[23:24]
	v_add_f64_e32 v[8:9], v[45:46], v[8:9]
	scratch_load_b64 v[45:46], off, off offset:152 th:TH_LOAD_LU ; 8-byte Folded Reload
	s_wait_loadcnt 0x5
	v_fma_f64 v[68:69], v[57:58], s[10:11], -v[68:69]
	v_add_f64_e32 v[21:22], v[49:50], v[21:22]
	v_fma_f64 v[57:58], v[57:58], s[18:19], -v[70:71]
	v_add_f64_e32 v[10:11], v[51:52], v[10:11]
	v_add_f64_e32 v[23:24], v[43:44], v[23:24]
	v_fma_f64 v[43:44], v[63:64], s[18:19], v[103:104]
	v_add_f64_e32 v[8:9], v[37:38], v[8:9]
	scratch_load_b64 v[37:38], off, off offset:144 th:TH_LOAD_LU ; 8-byte Folded Reload
	v_add_f64_e32 v[21:22], v[41:42], v[21:22]
	scratch_load_b64 v[41:42], off, off offset:32 th:TH_LOAD_LU ; 8-byte Folded Reload
	v_add_f64_e32 v[10:11], v[39:40], v[10:11]
	v_fma_f64 v[39:40], v[63:64], s[20:21], v[139:140]
	v_add_f64_e32 v[23:24], v[35:36], v[23:24]
	v_fma_f64 v[35:36], v[75:76], s[12:13], v[97:98]
	v_add_f64_e32 v[17:18], v[43:44], v[17:18]
	v_add_f64_e32 v[8:9], v[19:20], v[8:9]
	;; [unrolled: 1-line block ×3, first 2 shown]
	scratch_load_b64 v[33:34], off, off offset:16 th:TH_LOAD_LU ; 8-byte Folded Reload
	v_add_f64_e32 v[10:11], v[27:28], v[10:11]
	v_add_f64_e32 v[15:16], v[39:40], v[15:16]
	;; [unrolled: 1-line block ×3, first 2 shown]
	v_fma_f64 v[27:28], v[75:76], s[8:9], v[129:130]
	scratch_load_b64 v[39:40], off, off th:TH_LOAD_LU ; 8-byte Folded Reload
	s_wait_loadcnt 0x7
	v_fma_f64 v[83:84], v[55:56], s[20:21], -v[83:84]
	s_wait_loadcnt 0x6
	v_fma_f64 v[55:56], v[55:56], s[14:15], -v[85:86]
	s_delay_alu instid0(VALU_DEP_2) | instskip(NEXT) | instid1(VALU_DEP_2)
	v_add_f64_e32 v[25:26], v[83:84], v[25:26]
	v_add_f64_e32 v[13:14], v[55:56], v[13:14]
	s_wait_loadcnt 0x5
	v_fma_f64 v[47:48], v[59:60], s[22:23], -v[47:48]
	s_delay_alu instid0(VALU_DEP_3) | instskip(SKIP_2) | instid1(VALU_DEP_4)
	v_add_f64_e32 v[25:26], v[68:69], v[25:26]
	s_wait_loadcnt 0x4
	v_fma_f64 v[45:46], v[59:60], s[12:13], -v[45:46]
	v_add_f64_e32 v[13:14], v[57:58], v[13:14]
	s_wait_loadcnt 0x3
	v_fma_f64 v[37:38], v[61:62], s[22:23], -v[37:38]
	s_delay_alu instid0(VALU_DEP_3)
	v_add_f64_e32 v[25:26], v[45:46], v[25:26]
	scratch_load_b64 v[45:46], off, off offset:136 th:TH_LOAD_LU ; 8-byte Folded Reload
	s_wait_loadcnt 0x3
	v_fma_f64 v[41:42], v[61:62], s[20:21], -v[41:42]
	v_add_f64_e32 v[13:14], v[47:48], v[13:14]
	scratch_load_b64 v[47:48], off, off offset:24 th:TH_LOAD_LU ; 8-byte Folded Reload
	v_add_f64_e32 v[19:20], v[37:38], v[25:26]
	scratch_load_b64 v[37:38], off, off offset:112 th:TH_LOAD_LU ; 8-byte Folded Reload
	v_fma_f64 v[25:26], v[65:66], s[20:21], -v[133:134]
	v_add_f64_e32 v[13:14], v[41:42], v[13:14]
	scratch_load_b64 v[41:42], off, off offset:8 th:TH_LOAD_LU ; 8-byte Folded Reload
	v_fma_f64 v[31:32], v[65:66], s[14:15], -v[31:32]
	s_wait_loadcnt 0x5
	v_fma_f64 v[33:34], v[65:66], s[12:13], -v[33:34]
	s_wait_loadcnt 0x4
	v_fma_f64 v[39:40], v[77:78], s[10:11], -v[39:40]
	v_add_f64_e32 v[21:22], v[25:26], v[21:22]
	s_delay_alu instid0(VALU_DEP_4) | instskip(SKIP_3) | instid1(VALU_DEP_2)
	v_add_f64_e32 v[29:30], v[31:32], v[19:20]
	scratch_load_b64 v[31:32], off, off offset:96 th:TH_LOAD_LU ; 8-byte Folded Reload
	v_fma_f64 v[19:20], v[77:78], s[12:13], -v[95:96]
	v_add_f64_e32 v[33:34], v[33:34], v[13:14]
	v_add_f64_e32 v[13:14], v[19:20], v[23:24]
	s_wait_loadcnt 0x4
	v_fma_f64 v[45:46], v[63:64], s[14:15], v[45:46]
	s_wait_loadcnt 0x3
	v_fma_f64 v[47:48], v[63:64], s[12:13], v[47:48]
	s_delay_alu instid0(VALU_DEP_2)
	v_add_f64_e32 v[25:26], v[45:46], v[8:9]
	v_fma_f64 v[8:9], v[77:78], s[8:9], -v[127:128]
	s_wait_loadcnt 0x2
	v_fma_f64 v[37:38], v[75:76], s[0:1], v[37:38]
	s_wait_loadcnt 0x1
	v_fma_f64 v[41:42], v[75:76], s[10:11], v[41:42]
	v_add_f64_e32 v[43:44], v[47:48], v[10:11]
	v_add_nc_u32_e32 v45, 0xbb, v67
	v_add_f64_e32 v[10:11], v[27:28], v[15:16]
	v_add_nc_u32_e32 v46, 0xcc, v67
	v_add_nc_u32_e32 v47, 0xdd, v67
	;; [unrolled: 1-line block ×3, first 2 shown]
	v_mad_co_u64_u32 v[27:28], null, s4, v45, 0
	v_add_f64_e32 v[15:16], v[35:36], v[17:18]
	s_delay_alu instid0(VALU_DEP_3) | instskip(SKIP_1) | instid1(VALU_DEP_4)
	v_mad_co_u64_u32 v[35:36], null, s4, v48, 0
	v_add_f64_e32 v[8:9], v[8:9], v[21:22]
	v_mov_b32_e32 v21, v28
	v_add_f64_e32 v[19:20], v[37:38], v[25:26]
	v_mad_co_u64_u32 v[25:26], null, s4, v46, 0
	v_add_f64_e32 v[23:24], v[41:42], v[43:44]
	s_wait_loadcnt 0x0
	v_fma_f64 v[31:32], v[77:78], s[0:1], -v[31:32]
	s_delay_alu instid0(VALU_DEP_1)
	v_add_f64_e32 v[17:18], v[31:32], v[29:30]
	v_mad_co_u64_u32 v[29:30], null, s4, v47, 0
	v_mad_co_u64_u32 v[31:32], null, s5, v45, v[21:22]
	v_add_f64_e32 v[21:22], v[39:40], v[33:34]
	v_add_nc_u32_e32 v39, 0xff, v67
	v_add_nc_u32_e32 v40, 0x110, v67
	v_mad_co_u64_u32 v[32:33], null, s5, v46, v[26:27]
	v_mov_b32_e32 v26, v30
	v_mov_b32_e32 v28, v31
	;; [unrolled: 1-line block ×3, first 2 shown]
	s_delay_alu instid0(VALU_DEP_3) | instskip(NEXT) | instid1(VALU_DEP_3)
	v_mad_co_u64_u32 v[33:34], null, s5, v47, v[26:27]
	v_lshlrev_b64_e32 v[27:28], 4, v[27:28]
	v_mov_b32_e32 v26, v32
	s_delay_alu instid0(VALU_DEP_4) | instskip(SKIP_2) | instid1(VALU_DEP_4)
	v_mad_co_u64_u32 v[36:37], null, s5, v48, v[30:31]
	v_mad_co_u64_u32 v[31:32], null, s4, v40, 0
	;; [unrolled: 1-line block ×3, first 2 shown]
                                        ; kill: def $vgpr34 killed $sgpr0 killed $exec
	v_lshlrev_b64_e32 v[25:26], 4, v[25:26]
	v_add_co_u32 v27, vcc_lo, v12, v27
	v_mov_b32_e32 v30, v33
	s_wait_alu 0xfffd
	v_add_co_ci_u32_e32 v28, vcc_lo, v255, v28, vcc_lo
	v_mov_b32_e32 v33, v38
	v_add_co_u32 v25, vcc_lo, v12, v25
	global_store_b128 v[27:28], v[0:3], off
	v_lshlrev_b64_e32 v[1:2], 4, v[29:30]
	s_wait_alu 0xfffd
	v_add_co_ci_u32_e32 v26, vcc_lo, v255, v26, vcc_lo
	v_mov_b32_e32 v0, v32
	v_mad_co_u64_u32 v[33:34], null, s5, v39, v[33:34]
	global_store_b128 v[25:26], v[4:7], off
	v_mad_co_u64_u32 v[3:4], null, s5, v40, v[0:1]
	v_add_co_u32 v0, vcc_lo, v12, v1
	v_lshlrev_b64_e32 v[4:5], 4, v[35:36]
	s_wait_alu 0xfffd
	v_add_co_ci_u32_e32 v1, vcc_lo, v255, v2, vcc_lo
	v_mov_b32_e32 v38, v33
	v_mov_b32_e32 v32, v3
	s_delay_alu instid0(VALU_DEP_4) | instskip(NEXT) | instid1(VALU_DEP_3)
	v_add_co_u32 v4, vcc_lo, v12, v4
	v_lshlrev_b64_e32 v[2:3], 4, v[37:38]
	s_wait_alu 0xfffd
	v_add_co_ci_u32_e32 v5, vcc_lo, v255, v5, vcc_lo
	v_lshlrev_b64_e32 v[6:7], 4, v[31:32]
	s_delay_alu instid0(VALU_DEP_3) | instskip(SKIP_2) | instid1(VALU_DEP_3)
	v_add_co_u32 v2, vcc_lo, v12, v2
	s_wait_alu 0xfffd
	v_add_co_ci_u32_e32 v3, vcc_lo, v255, v3, vcc_lo
	v_add_co_u32 v6, vcc_lo, v12, v6
	s_wait_alu 0xfffd
	v_add_co_ci_u32_e32 v7, vcc_lo, v255, v7, vcc_lo
	s_clause 0x3
	global_store_b128 v[0:1], v[8:11], off
	global_store_b128 v[4:5], v[13:16], off
	;; [unrolled: 1-line block ×4, first 2 shown]
.LBB0_48:
	s_endpgm
	.section	.rodata,"a",@progbits
	.p2align	6, 0x0
	.amdhsa_kernel fft_rtc_back_len289_factors_17_17_wgs_119_tpt_17_dp_op_CI_CI_sbcc_dirReg_intrinsicRead
		.amdhsa_group_segment_fixed_size 0
		.amdhsa_private_segment_fixed_size 196
		.amdhsa_kernarg_size 112
		.amdhsa_user_sgpr_count 2
		.amdhsa_user_sgpr_dispatch_ptr 0
		.amdhsa_user_sgpr_queue_ptr 0
		.amdhsa_user_sgpr_kernarg_segment_ptr 1
		.amdhsa_user_sgpr_dispatch_id 0
		.amdhsa_user_sgpr_private_segment_size 0
		.amdhsa_wavefront_size32 1
		.amdhsa_uses_dynamic_stack 0
		.amdhsa_enable_private_segment 1
		.amdhsa_system_sgpr_workgroup_id_x 1
		.amdhsa_system_sgpr_workgroup_id_y 0
		.amdhsa_system_sgpr_workgroup_id_z 0
		.amdhsa_system_sgpr_workgroup_info 0
		.amdhsa_system_vgpr_workitem_id 0
		.amdhsa_next_free_vgpr 256
		.amdhsa_next_free_sgpr 65
		.amdhsa_reserve_vcc 1
		.amdhsa_float_round_mode_32 0
		.amdhsa_float_round_mode_16_64 0
		.amdhsa_float_denorm_mode_32 3
		.amdhsa_float_denorm_mode_16_64 3
		.amdhsa_fp16_overflow 0
		.amdhsa_workgroup_processor_mode 1
		.amdhsa_memory_ordered 1
		.amdhsa_forward_progress 0
		.amdhsa_round_robin_scheduling 0
		.amdhsa_exception_fp_ieee_invalid_op 0
		.amdhsa_exception_fp_denorm_src 0
		.amdhsa_exception_fp_ieee_div_zero 0
		.amdhsa_exception_fp_ieee_overflow 0
		.amdhsa_exception_fp_ieee_underflow 0
		.amdhsa_exception_fp_ieee_inexact 0
		.amdhsa_exception_int_div_zero 0
	.end_amdhsa_kernel
	.text
.Lfunc_end0:
	.size	fft_rtc_back_len289_factors_17_17_wgs_119_tpt_17_dp_op_CI_CI_sbcc_dirReg_intrinsicRead, .Lfunc_end0-fft_rtc_back_len289_factors_17_17_wgs_119_tpt_17_dp_op_CI_CI_sbcc_dirReg_intrinsicRead
                                        ; -- End function
	.section	.AMDGPU.csdata,"",@progbits
; Kernel info:
; codeLenInByte = 16400
; NumSgprs: 67
; NumVgprs: 256
; ScratchSize: 196
; MemoryBound: 0
; FloatMode: 240
; IeeeMode: 1
; LDSByteSize: 0 bytes/workgroup (compile time only)
; SGPRBlocks: 8
; VGPRBlocks: 31
; NumSGPRsForWavesPerEU: 67
; NumVGPRsForWavesPerEU: 256
; Occupancy: 5
; WaveLimiterHint : 1
; COMPUTE_PGM_RSRC2:SCRATCH_EN: 1
; COMPUTE_PGM_RSRC2:USER_SGPR: 2
; COMPUTE_PGM_RSRC2:TRAP_HANDLER: 0
; COMPUTE_PGM_RSRC2:TGID_X_EN: 1
; COMPUTE_PGM_RSRC2:TGID_Y_EN: 0
; COMPUTE_PGM_RSRC2:TGID_Z_EN: 0
; COMPUTE_PGM_RSRC2:TIDIG_COMP_CNT: 0
	.text
	.p2alignl 7, 3214868480
	.fill 96, 4, 3214868480
	.type	__hip_cuid_36c047a9cdba41e5,@object ; @__hip_cuid_36c047a9cdba41e5
	.section	.bss,"aw",@nobits
	.globl	__hip_cuid_36c047a9cdba41e5
__hip_cuid_36c047a9cdba41e5:
	.byte	0                               ; 0x0
	.size	__hip_cuid_36c047a9cdba41e5, 1

	.ident	"AMD clang version 19.0.0git (https://github.com/RadeonOpenCompute/llvm-project roc-6.4.0 25133 c7fe45cf4b819c5991fe208aaa96edf142730f1d)"
	.section	".note.GNU-stack","",@progbits
	.addrsig
	.addrsig_sym __hip_cuid_36c047a9cdba41e5
	.amdgpu_metadata
---
amdhsa.kernels:
  - .args:
      - .actual_access:  read_only
        .address_space:  global
        .offset:         0
        .size:           8
        .value_kind:     global_buffer
      - .address_space:  global
        .offset:         8
        .size:           8
        .value_kind:     global_buffer
      - .offset:         16
        .size:           8
        .value_kind:     by_value
      - .actual_access:  read_only
        .address_space:  global
        .offset:         24
        .size:           8
        .value_kind:     global_buffer
      - .actual_access:  read_only
        .address_space:  global
        .offset:         32
        .size:           8
        .value_kind:     global_buffer
      - .actual_access:  read_only
        .address_space:  global
        .offset:         40
        .size:           8
        .value_kind:     global_buffer
      - .offset:         48
        .size:           8
        .value_kind:     by_value
      - .actual_access:  read_only
        .address_space:  global
        .offset:         56
        .size:           8
        .value_kind:     global_buffer
      - .actual_access:  read_only
        .address_space:  global
        .offset:         64
        .size:           8
        .value_kind:     global_buffer
      - .offset:         72
        .size:           4
        .value_kind:     by_value
      - .actual_access:  read_only
        .address_space:  global
        .offset:         80
        .size:           8
        .value_kind:     global_buffer
      - .actual_access:  read_only
        .address_space:  global
        .offset:         88
        .size:           8
        .value_kind:     global_buffer
      - .actual_access:  read_only
        .address_space:  global
        .offset:         96
        .size:           8
        .value_kind:     global_buffer
      - .actual_access:  write_only
        .address_space:  global
        .offset:         104
        .size:           8
        .value_kind:     global_buffer
    .group_segment_fixed_size: 0
    .kernarg_segment_align: 8
    .kernarg_segment_size: 112
    .language:       OpenCL C
    .language_version:
      - 2
      - 0
    .max_flat_workgroup_size: 119
    .name:           fft_rtc_back_len289_factors_17_17_wgs_119_tpt_17_dp_op_CI_CI_sbcc_dirReg_intrinsicRead
    .private_segment_fixed_size: 196
    .sgpr_count:     67
    .sgpr_spill_count: 0
    .symbol:         fft_rtc_back_len289_factors_17_17_wgs_119_tpt_17_dp_op_CI_CI_sbcc_dirReg_intrinsicRead.kd
    .uniform_work_group_size: 1
    .uses_dynamic_stack: false
    .vgpr_count:     256
    .vgpr_spill_count: 90
    .wavefront_size: 32
    .workgroup_processor_mode: 1
amdhsa.target:   amdgcn-amd-amdhsa--gfx1201
amdhsa.version:
  - 1
  - 2
...

	.end_amdgpu_metadata
